;; amdgpu-corpus repo=ROCm/rocFFT kind=compiled arch=gfx1030 opt=O3
	.text
	.amdgcn_target "amdgcn-amd-amdhsa--gfx1030"
	.amdhsa_code_object_version 6
	.protected	fft_rtc_fwd_len1530_factors_17_3_6_5_wgs_102_tpt_102_halfLds_half_ip_CI_unitstride_sbrr_C2R_dirReg ; -- Begin function fft_rtc_fwd_len1530_factors_17_3_6_5_wgs_102_tpt_102_halfLds_half_ip_CI_unitstride_sbrr_C2R_dirReg
	.globl	fft_rtc_fwd_len1530_factors_17_3_6_5_wgs_102_tpt_102_halfLds_half_ip_CI_unitstride_sbrr_C2R_dirReg
	.p2align	8
	.type	fft_rtc_fwd_len1530_factors_17_3_6_5_wgs_102_tpt_102_halfLds_half_ip_CI_unitstride_sbrr_C2R_dirReg,@function
fft_rtc_fwd_len1530_factors_17_3_6_5_wgs_102_tpt_102_halfLds_half_ip_CI_unitstride_sbrr_C2R_dirReg: ; @fft_rtc_fwd_len1530_factors_17_3_6_5_wgs_102_tpt_102_halfLds_half_ip_CI_unitstride_sbrr_C2R_dirReg
; %bb.0:
	s_clause 0x2
	s_load_dwordx4 s[8:11], s[4:5], 0x0
	s_load_dwordx2 s[2:3], s[4:5], 0x50
	s_load_dwordx2 s[12:13], s[4:5], 0x18
	v_mul_u32_u24_e32 v1, 0x283, v0
	v_mov_b32_e32 v3, 0
	v_add_nc_u32_sdwa v5, s6, v1 dst_sel:DWORD dst_unused:UNUSED_PAD src0_sel:DWORD src1_sel:WORD_1
	v_mov_b32_e32 v1, 0
	v_mov_b32_e32 v6, v3
	v_mov_b32_e32 v2, 0
	s_waitcnt lgkmcnt(0)
	v_cmp_lt_u64_e64 s0, s[10:11], 2
	s_and_b32 vcc_lo, exec_lo, s0
	s_cbranch_vccnz .LBB0_8
; %bb.1:
	s_load_dwordx2 s[0:1], s[4:5], 0x10
	v_mov_b32_e32 v1, 0
	s_add_u32 s6, s12, 8
	v_mov_b32_e32 v2, 0
	s_addc_u32 s7, s13, 0
	s_mov_b64 s[16:17], 1
	s_waitcnt lgkmcnt(0)
	s_add_u32 s14, s0, 8
	s_addc_u32 s15, s1, 0
.LBB0_2:                                ; =>This Inner Loop Header: Depth=1
	s_load_dwordx2 s[18:19], s[14:15], 0x0
                                        ; implicit-def: $vgpr7_vgpr8
	s_mov_b32 s0, exec_lo
	s_waitcnt lgkmcnt(0)
	v_or_b32_e32 v4, s19, v6
	v_cmpx_ne_u64_e32 0, v[3:4]
	s_xor_b32 s1, exec_lo, s0
	s_cbranch_execz .LBB0_4
; %bb.3:                                ;   in Loop: Header=BB0_2 Depth=1
	v_cvt_f32_u32_e32 v4, s18
	v_cvt_f32_u32_e32 v7, s19
	s_sub_u32 s0, 0, s18
	s_subb_u32 s20, 0, s19
	v_fmac_f32_e32 v4, 0x4f800000, v7
	v_rcp_f32_e32 v4, v4
	v_mul_f32_e32 v4, 0x5f7ffffc, v4
	v_mul_f32_e32 v7, 0x2f800000, v4
	v_trunc_f32_e32 v7, v7
	v_fmac_f32_e32 v4, 0xcf800000, v7
	v_cvt_u32_f32_e32 v7, v7
	v_cvt_u32_f32_e32 v4, v4
	v_mul_lo_u32 v8, s0, v7
	v_mul_hi_u32 v9, s0, v4
	v_mul_lo_u32 v10, s20, v4
	v_add_nc_u32_e32 v8, v9, v8
	v_mul_lo_u32 v9, s0, v4
	v_add_nc_u32_e32 v8, v8, v10
	v_mul_hi_u32 v10, v4, v9
	v_mul_lo_u32 v11, v4, v8
	v_mul_hi_u32 v12, v4, v8
	v_mul_hi_u32 v13, v7, v9
	v_mul_lo_u32 v9, v7, v9
	v_mul_hi_u32 v14, v7, v8
	v_mul_lo_u32 v8, v7, v8
	v_add_co_u32 v10, vcc_lo, v10, v11
	v_add_co_ci_u32_e32 v11, vcc_lo, 0, v12, vcc_lo
	v_add_co_u32 v9, vcc_lo, v10, v9
	v_add_co_ci_u32_e32 v9, vcc_lo, v11, v13, vcc_lo
	v_add_co_ci_u32_e32 v10, vcc_lo, 0, v14, vcc_lo
	v_add_co_u32 v8, vcc_lo, v9, v8
	v_add_co_ci_u32_e32 v9, vcc_lo, 0, v10, vcc_lo
	v_add_co_u32 v4, vcc_lo, v4, v8
	v_add_co_ci_u32_e32 v7, vcc_lo, v7, v9, vcc_lo
	v_mul_hi_u32 v8, s0, v4
	v_mul_lo_u32 v10, s20, v4
	v_mul_lo_u32 v9, s0, v7
	v_add_nc_u32_e32 v8, v8, v9
	v_mul_lo_u32 v9, s0, v4
	v_add_nc_u32_e32 v8, v8, v10
	v_mul_hi_u32 v10, v4, v9
	v_mul_lo_u32 v11, v4, v8
	v_mul_hi_u32 v12, v4, v8
	v_mul_hi_u32 v13, v7, v9
	v_mul_lo_u32 v9, v7, v9
	v_mul_hi_u32 v14, v7, v8
	v_mul_lo_u32 v8, v7, v8
	v_add_co_u32 v10, vcc_lo, v10, v11
	v_add_co_ci_u32_e32 v11, vcc_lo, 0, v12, vcc_lo
	v_add_co_u32 v9, vcc_lo, v10, v9
	v_add_co_ci_u32_e32 v9, vcc_lo, v11, v13, vcc_lo
	v_add_co_ci_u32_e32 v10, vcc_lo, 0, v14, vcc_lo
	v_add_co_u32 v8, vcc_lo, v9, v8
	v_add_co_ci_u32_e32 v9, vcc_lo, 0, v10, vcc_lo
	v_add_co_u32 v4, vcc_lo, v4, v8
	v_add_co_ci_u32_e32 v11, vcc_lo, v7, v9, vcc_lo
	v_mul_hi_u32 v13, v5, v4
	v_mad_u64_u32 v[9:10], null, v6, v4, 0
	v_mad_u64_u32 v[7:8], null, v5, v11, 0
	;; [unrolled: 1-line block ×3, first 2 shown]
	v_add_co_u32 v4, vcc_lo, v13, v7
	v_add_co_ci_u32_e32 v7, vcc_lo, 0, v8, vcc_lo
	v_add_co_u32 v4, vcc_lo, v4, v9
	v_add_co_ci_u32_e32 v4, vcc_lo, v7, v10, vcc_lo
	v_add_co_ci_u32_e32 v7, vcc_lo, 0, v12, vcc_lo
	v_add_co_u32 v4, vcc_lo, v4, v11
	v_add_co_ci_u32_e32 v9, vcc_lo, 0, v7, vcc_lo
	v_mul_lo_u32 v10, s19, v4
	v_mad_u64_u32 v[7:8], null, s18, v4, 0
	v_mul_lo_u32 v11, s18, v9
	v_sub_co_u32 v7, vcc_lo, v5, v7
	v_add3_u32 v8, v8, v11, v10
	v_sub_nc_u32_e32 v10, v6, v8
	v_subrev_co_ci_u32_e64 v10, s0, s19, v10, vcc_lo
	v_add_co_u32 v11, s0, v4, 2
	v_add_co_ci_u32_e64 v12, s0, 0, v9, s0
	v_sub_co_u32 v13, s0, v7, s18
	v_sub_co_ci_u32_e32 v8, vcc_lo, v6, v8, vcc_lo
	v_subrev_co_ci_u32_e64 v10, s0, 0, v10, s0
	v_cmp_le_u32_e32 vcc_lo, s18, v13
	v_cmp_eq_u32_e64 s0, s19, v8
	v_cndmask_b32_e64 v13, 0, -1, vcc_lo
	v_cmp_le_u32_e32 vcc_lo, s19, v10
	v_cndmask_b32_e64 v14, 0, -1, vcc_lo
	v_cmp_le_u32_e32 vcc_lo, s18, v7
	;; [unrolled: 2-line block ×3, first 2 shown]
	v_cndmask_b32_e64 v15, 0, -1, vcc_lo
	v_cmp_eq_u32_e32 vcc_lo, s19, v10
	v_cndmask_b32_e64 v7, v15, v7, s0
	v_cndmask_b32_e32 v10, v14, v13, vcc_lo
	v_add_co_u32 v13, vcc_lo, v4, 1
	v_add_co_ci_u32_e32 v14, vcc_lo, 0, v9, vcc_lo
	v_cmp_ne_u32_e32 vcc_lo, 0, v10
	v_cndmask_b32_e32 v8, v14, v12, vcc_lo
	v_cndmask_b32_e32 v10, v13, v11, vcc_lo
	v_cmp_ne_u32_e32 vcc_lo, 0, v7
	v_cndmask_b32_e32 v8, v9, v8, vcc_lo
	v_cndmask_b32_e32 v7, v4, v10, vcc_lo
.LBB0_4:                                ;   in Loop: Header=BB0_2 Depth=1
	s_andn2_saveexec_b32 s0, s1
	s_cbranch_execz .LBB0_6
; %bb.5:                                ;   in Loop: Header=BB0_2 Depth=1
	v_cvt_f32_u32_e32 v4, s18
	s_sub_i32 s1, 0, s18
	v_rcp_iflag_f32_e32 v4, v4
	v_mul_f32_e32 v4, 0x4f7ffffe, v4
	v_cvt_u32_f32_e32 v4, v4
	v_mul_lo_u32 v7, s1, v4
	v_mul_hi_u32 v7, v4, v7
	v_add_nc_u32_e32 v4, v4, v7
	v_mul_hi_u32 v4, v5, v4
	v_mul_lo_u32 v7, v4, s18
	v_add_nc_u32_e32 v8, 1, v4
	v_sub_nc_u32_e32 v7, v5, v7
	v_subrev_nc_u32_e32 v9, s18, v7
	v_cmp_le_u32_e32 vcc_lo, s18, v7
	v_cndmask_b32_e32 v7, v7, v9, vcc_lo
	v_cndmask_b32_e32 v4, v4, v8, vcc_lo
	v_cmp_le_u32_e32 vcc_lo, s18, v7
	v_add_nc_u32_e32 v8, 1, v4
	v_cndmask_b32_e32 v7, v4, v8, vcc_lo
	v_mov_b32_e32 v8, v3
.LBB0_6:                                ;   in Loop: Header=BB0_2 Depth=1
	s_or_b32 exec_lo, exec_lo, s0
	s_load_dwordx2 s[0:1], s[6:7], 0x0
	v_mul_lo_u32 v4, v8, s18
	v_mul_lo_u32 v11, v7, s19
	v_mad_u64_u32 v[9:10], null, v7, s18, 0
	s_add_u32 s16, s16, 1
	s_addc_u32 s17, s17, 0
	s_add_u32 s6, s6, 8
	s_addc_u32 s7, s7, 0
	;; [unrolled: 2-line block ×3, first 2 shown]
	v_add3_u32 v4, v10, v11, v4
	v_sub_co_u32 v5, vcc_lo, v5, v9
	v_sub_co_ci_u32_e32 v4, vcc_lo, v6, v4, vcc_lo
	s_waitcnt lgkmcnt(0)
	v_mul_lo_u32 v6, s1, v5
	v_mul_lo_u32 v4, s0, v4
	v_mad_u64_u32 v[1:2], null, s0, v5, v[1:2]
	v_cmp_ge_u64_e64 s0, s[16:17], s[10:11]
	s_and_b32 vcc_lo, exec_lo, s0
	v_add3_u32 v2, v6, v2, v4
	s_cbranch_vccnz .LBB0_9
; %bb.7:                                ;   in Loop: Header=BB0_2 Depth=1
	v_mov_b32_e32 v5, v7
	v_mov_b32_e32 v6, v8
	s_branch .LBB0_2
.LBB0_8:
	v_mov_b32_e32 v8, v6
	v_mov_b32_e32 v7, v5
.LBB0_9:
	s_lshl_b64 s[0:1], s[10:11], 3
	v_mul_hi_u32 v5, 0x2828283, v0
	s_add_u32 s0, s12, s0
	s_addc_u32 s1, s13, s1
	s_load_dwordx2 s[0:1], s[0:1], 0x0
	s_load_dwordx2 s[4:5], s[4:5], 0x20
	s_waitcnt lgkmcnt(0)
	v_mul_lo_u32 v3, s0, v8
	v_mul_lo_u32 v4, s1, v7
	v_mad_u64_u32 v[1:2], null, s0, v7, v[1:2]
	v_cmp_gt_u64_e32 vcc_lo, s[4:5], v[7:8]
	v_add3_u32 v2, v4, v2, v3
	v_mul_u32_u24_e32 v4, 0x66, v5
	v_lshlrev_b64 v[2:3], 2, v[1:2]
	v_sub_nc_u32_e32 v0, v0, v4
	s_and_saveexec_b32 s1, vcc_lo
	s_cbranch_execz .LBB0_13
; %bb.10:
	v_mov_b32_e32 v1, 0
	v_add_co_u32 v4, s0, s2, v2
	v_add_co_ci_u32_e64 v5, s0, s3, v3, s0
	v_lshlrev_b64 v[6:7], 2, v[0:1]
	s_mov_b32 s4, exec_lo
	v_add_co_u32 v6, s0, v4, v6
	v_add_co_ci_u32_e64 v7, s0, v5, v7, s0
	v_add_co_u32 v8, s0, 0x800, v6
	v_add_co_ci_u32_e64 v9, s0, 0, v7, s0
	;; [unrolled: 2-line block ×3, first 2 shown]
	s_clause 0xe
	global_load_dword v12, v[6:7], off
	global_load_dword v13, v[6:7], off offset:408
	global_load_dword v14, v[6:7], off offset:816
	;; [unrolled: 1-line block ×14, first 2 shown]
	v_lshl_add_u32 v11, v0, 2, 0
	v_add_nc_u32_e32 v22, 0x200, v11
	v_add_nc_u32_e32 v23, 0x400, v11
	;; [unrolled: 1-line block ×6, first 2 shown]
	s_waitcnt vmcnt(13)
	ds_write2_b32 v11, v12, v13 offset1:102
	s_waitcnt vmcnt(11)
	ds_write2_b32 v22, v14, v15 offset0:76 offset1:178
	s_waitcnt vmcnt(9)
	ds_write2_b32 v23, v16, v6 offset0:152 offset1:254
	;; [unrolled: 2-line block ×6, first 2 shown]
	s_waitcnt vmcnt(0)
	ds_write_b32 v11, v10 offset:5712
	v_cmpx_eq_u32_e32 0x65, v0
	s_cbranch_execz .LBB0_12
; %bb.11:
	v_add_co_u32 v4, s0, 0x1000, v4
	v_add_co_ci_u32_e64 v5, s0, 0, v5, s0
	v_mov_b32_e32 v0, 0x65
	global_load_dword v4, v[4:5], off offset:2024
	s_waitcnt vmcnt(0)
	ds_write_b32 v1, v4 offset:6120
.LBB0_12:
	s_or_b32 exec_lo, exec_lo, s4
.LBB0_13:
	s_or_b32 exec_lo, exec_lo, s1
	v_lshlrev_b32_e32 v4, 2, v0
	s_waitcnt lgkmcnt(0)
	s_barrier
	buffer_gl0_inv
	s_add_u32 s1, s8, 0x17a4
	v_add_nc_u32_e32 v26, 0, v4
	v_sub_nc_u32_e32 v7, 0, v4
	s_addc_u32 s4, s9, 0
	s_mov_b32 s5, exec_lo
                                        ; implicit-def: $vgpr5_vgpr6
	ds_read_u16 v10, v26
	ds_read_u16 v11, v7 offset:6120
	s_waitcnt lgkmcnt(0)
	v_add_f16_e32 v9, v11, v10
	v_sub_f16_e32 v8, v10, v11
	v_cmpx_ne_u32_e32 0, v0
	s_xor_b32 s5, exec_lo, s5
	s_cbranch_execz .LBB0_15
; %bb.14:
	v_mov_b32_e32 v1, 0
	v_add_f16_e32 v9, v11, v10
	v_sub_f16_e32 v10, v10, v11
	v_lshlrev_b64 v[5:6], 2, v[0:1]
	v_add_co_u32 v5, s0, s1, v5
	v_add_co_ci_u32_e64 v6, s0, s4, v6, s0
	global_load_dword v5, v[5:6], off
	ds_read_u16 v6, v7 offset:6122
	ds_read_u16 v8, v26 offset:2
	s_waitcnt lgkmcnt(0)
	v_add_f16_e32 v11, v6, v8
	v_sub_f16_e32 v6, v8, v6
	s_waitcnt vmcnt(0)
	v_lshrrev_b32_e32 v12, 16, v5
	v_fma_f16 v13, -v10, v12, v9
	v_fma_f16 v14, v11, v12, -v6
	v_fma_f16 v8, v11, v12, v6
	v_fma_f16 v9, v10, v12, v9
	v_fmac_f16_e32 v13, v5, v11
	v_fmac_f16_e32 v14, v10, v5
	;; [unrolled: 1-line block ×3, first 2 shown]
	v_fma_f16 v9, -v5, v11, v9
	v_mov_b32_e32 v6, v1
	v_mov_b32_e32 v5, v0
	v_pack_b32_f16 v10, v13, v14
	ds_write_b32 v7, v10 offset:6120
.LBB0_15:
	s_andn2_saveexec_b32 s0, s5
	s_cbranch_execz .LBB0_17
; %bb.16:
	v_mov_b32_e32 v1, 0
	ds_read_b32 v5, v1 offset:3060
	s_waitcnt lgkmcnt(0)
	v_pk_mul_f16 v10, 0xc0004000, v5
	v_mov_b32_e32 v5, 0
	v_mov_b32_e32 v6, 0
	ds_write_b32 v1, v10 offset:3060
.LBB0_17:
	s_or_b32 exec_lo, exec_lo, s0
	v_lshlrev_b64 v[5:6], 2, v[5:6]
	v_perm_b32 v8, v8, v9, 0x5040100
	v_add_co_u32 v5, s0, s1, v5
	v_add_co_ci_u32_e64 v6, s0, s4, v6, s0
	s_clause 0x4
	global_load_dword v1, v[5:6], off offset:408
	global_load_dword v10, v[5:6], off offset:816
	;; [unrolled: 1-line block ×5, first 2 shown]
	v_add_co_u32 v5, s0, 0x800, v5
	v_add_co_ci_u32_e64 v6, s0, 0, v6, s0
	ds_write_b32 v26, v8
	v_cmp_gt_u32_e64 s0, 51, v0
	global_load_dword v14, v[5:6], off offset:400
	ds_read_b32 v8, v26 offset:408
	ds_read_b32 v9, v7 offset:5712
	s_waitcnt lgkmcnt(0)
	v_add_f16_e32 v15, v8, v9
	v_add_f16_sdwa v16, v9, v8 dst_sel:DWORD dst_unused:UNUSED_PAD src0_sel:WORD_1 src1_sel:WORD_1
	v_sub_f16_e32 v17, v8, v9
	v_sub_f16_sdwa v8, v8, v9 dst_sel:DWORD dst_unused:UNUSED_PAD src0_sel:WORD_1 src1_sel:WORD_1
	s_waitcnt vmcnt(5)
	v_lshrrev_b32_e32 v18, 16, v1
	v_fma_f16 v9, v17, v18, v15
	v_fma_f16 v19, v16, v18, v8
	v_fma_f16 v15, -v17, v18, v15
	v_fma_f16 v8, v16, v18, -v8
	v_fma_f16 v9, -v1, v16, v9
	v_fmac_f16_e32 v19, v17, v1
	v_fmac_f16_e32 v15, v1, v16
	;; [unrolled: 1-line block ×3, first 2 shown]
	v_pack_b32_f16 v1, v9, v19
	s_waitcnt vmcnt(4)
	v_lshrrev_b32_e32 v9, 16, v10
	v_pack_b32_f16 v8, v15, v8
	ds_write_b32 v26, v1 offset:408
	ds_write_b32 v7, v8 offset:5712
	ds_read_b32 v1, v26 offset:816
	ds_read_b32 v8, v7 offset:5304
	s_waitcnt lgkmcnt(0)
	v_add_f16_e32 v15, v1, v8
	v_add_f16_sdwa v16, v8, v1 dst_sel:DWORD dst_unused:UNUSED_PAD src0_sel:WORD_1 src1_sel:WORD_1
	v_sub_f16_e32 v17, v1, v8
	v_sub_f16_sdwa v1, v1, v8 dst_sel:DWORD dst_unused:UNUSED_PAD src0_sel:WORD_1 src1_sel:WORD_1
	v_fma_f16 v8, v17, v9, v15
	v_fma_f16 v18, v16, v9, v1
	v_fma_f16 v15, -v17, v9, v15
	v_fma_f16 v1, v16, v9, -v1
	s_waitcnt vmcnt(3)
	v_lshrrev_b32_e32 v9, 16, v11
	v_fma_f16 v8, -v10, v16, v8
	v_fmac_f16_e32 v18, v17, v10
	v_fmac_f16_e32 v15, v10, v16
	v_fmac_f16_e32 v1, v17, v10
	v_pack_b32_f16 v8, v8, v18
	v_pack_b32_f16 v1, v15, v1
	ds_write_b32 v26, v8 offset:816
	ds_write_b32 v7, v1 offset:5304
	ds_read_b32 v1, v26 offset:1224
	ds_read_b32 v8, v7 offset:4896
	s_waitcnt lgkmcnt(0)
	v_add_f16_e32 v10, v1, v8
	v_add_f16_sdwa v15, v8, v1 dst_sel:DWORD dst_unused:UNUSED_PAD src0_sel:WORD_1 src1_sel:WORD_1
	v_sub_f16_e32 v16, v1, v8
	v_sub_f16_sdwa v1, v1, v8 dst_sel:DWORD dst_unused:UNUSED_PAD src0_sel:WORD_1 src1_sel:WORD_1
	v_fma_f16 v8, v16, v9, v10
	v_fma_f16 v17, v15, v9, v1
	v_fma_f16 v10, -v16, v9, v10
	v_fma_f16 v1, v15, v9, -v1
	s_waitcnt vmcnt(2)
	v_lshrrev_b32_e32 v9, 16, v12
	v_fma_f16 v8, -v11, v15, v8
	v_fmac_f16_e32 v17, v16, v11
	v_fmac_f16_e32 v10, v11, v15
	v_fmac_f16_e32 v1, v16, v11
	v_pack_b32_f16 v8, v8, v17
	;; [unrolled: 21-line block ×4, first 2 shown]
	v_pack_b32_f16 v1, v10, v1
	ds_write_b32 v26, v8 offset:2040
	ds_write_b32 v7, v1 offset:4080
	ds_read_b32 v1, v26 offset:2448
	ds_read_b32 v8, v7 offset:3672
	s_waitcnt lgkmcnt(0)
	v_add_f16_e32 v10, v1, v8
	v_add_f16_sdwa v11, v8, v1 dst_sel:DWORD dst_unused:UNUSED_PAD src0_sel:WORD_1 src1_sel:WORD_1
	v_sub_f16_e32 v12, v1, v8
	v_sub_f16_sdwa v1, v1, v8 dst_sel:DWORD dst_unused:UNUSED_PAD src0_sel:WORD_1 src1_sel:WORD_1
	v_fma_f16 v8, v12, v9, v10
	v_fma_f16 v13, v11, v9, v1
	v_fma_f16 v10, -v12, v9, v10
	v_fma_f16 v1, v11, v9, -v1
	v_fma_f16 v8, -v14, v11, v8
	v_fmac_f16_e32 v13, v12, v14
	v_fmac_f16_e32 v10, v14, v11
	;; [unrolled: 1-line block ×3, first 2 shown]
	v_pack_b32_f16 v8, v8, v13
	v_pack_b32_f16 v1, v10, v1
	ds_write_b32 v26, v8 offset:2448
	ds_write_b32 v7, v1 offset:3672
	s_and_saveexec_b32 s1, s0
	s_cbranch_execz .LBB0_19
; %bb.18:
	global_load_dword v1, v[5:6], off offset:808
	ds_read_b32 v5, v26 offset:2856
	ds_read_b32 v6, v7 offset:3264
	s_waitcnt lgkmcnt(0)
	v_add_f16_e32 v8, v5, v6
	v_add_f16_sdwa v9, v6, v5 dst_sel:DWORD dst_unused:UNUSED_PAD src0_sel:WORD_1 src1_sel:WORD_1
	v_sub_f16_e32 v10, v5, v6
	v_sub_f16_sdwa v5, v5, v6 dst_sel:DWORD dst_unused:UNUSED_PAD src0_sel:WORD_1 src1_sel:WORD_1
	s_waitcnt vmcnt(0)
	v_lshrrev_b32_e32 v11, 16, v1
	v_fma_f16 v6, v10, v11, v8
	v_fma_f16 v12, v9, v11, v5
	v_fma_f16 v8, -v10, v11, v8
	v_fma_f16 v5, v9, v11, -v5
	v_fma_f16 v6, -v1, v9, v6
	v_fmac_f16_e32 v12, v10, v1
	v_fmac_f16_e32 v8, v1, v9
	;; [unrolled: 1-line block ×3, first 2 shown]
	v_pack_b32_f16 v1, v6, v12
	v_pack_b32_f16 v5, v8, v5
	ds_write_b32 v26, v1 offset:2856
	ds_write_b32 v7, v5 offset:3264
.LBB0_19:
	s_or_b32 exec_lo, exec_lo, s1
	s_waitcnt lgkmcnt(0)
	s_barrier
	buffer_gl0_inv
	s_barrier
	buffer_gl0_inv
	ds_read2_b32 v[11:12], v26 offset1:90
	v_add_nc_u32_e32 v24, 0x1200, v26
	ds_read_b32 v31, v26 offset:5760
	v_add_nc_u32_e32 v23, 0x200, v26
	ds_read2_b32 v[6:7], v24 offset0:108 offset1:198
	ds_read2_b32 v[19:20], v23 offset0:52 offset1:142
	v_add_nc_u32_e32 v30, 0x800, v26
	v_add_nc_u32_e32 v1, 0x1000, v26
	;; [unrolled: 1-line block ×3, first 2 shown]
	v_mov_b32_e32 v56, 0xb5c8
	v_add_nc_u32_e32 v28, 0xc00, v26
	ds_read2_b32 v[15:16], v30 offset0:28 offset1:118
	ds_read2_b32 v[9:10], v1 offset0:56 offset1:146
	;; [unrolled: 1-line block ×3, first 2 shown]
	v_mov_b32_e32 v102, 0xb964
	v_mov_b32_e32 v68, 0xbb29
	ds_read2_b32 v[13:14], v28 offset0:132 offset1:222
	v_mov_b32_e32 v62, 0xbbf7
	v_mov_b32_e32 v103, 0xbbb2
	;; [unrolled: 1-line block ×4, first 2 shown]
	s_waitcnt lgkmcnt(6)
	v_pk_add_f16 v32, v12, v31 neg_lo:[0,1] neg_hi:[0,1]
	v_pk_add_f16 v39, v31, v12
	v_add_nc_u32_e32 v25, 0xa00, v26
	v_mov_b32_e32 v104, 0xb1e1
	s_mov_b32 s4, exec_lo
	v_mul_f16_sdwa v58, v32, v56 dst_sel:DWORD dst_unused:UNUSED_PAD src0_sel:WORD_1 src1_sel:DWORD
	s_waitcnt lgkmcnt(4)
	v_pk_add_f16 v33, v19, v7 neg_lo:[0,1] neg_hi:[0,1]
	v_lshrrev_b32_e32 v51, 16, v39
	v_mul_f16_e32 v64, 0xb964, v32
	v_pk_add_f16 v40, v7, v19
	v_fmamk_f16 v1, v39, 0x3b76, v58
	v_mul_f16_sdwa v59, v33, v102 dst_sel:DWORD dst_unused:UNUSED_PAD src0_sel:WORD_1 src1_sel:DWORD
	v_pk_add_f16 v34, v20, v6 neg_lo:[0,1] neg_hi:[0,1]
	v_fma_f16 v5, v51, 0x39e9, -v64
	v_lshrrev_b32_e32 v49, 16, v40
	v_add_f16_e32 v1, v11, v1
	v_fmamk_f16 v8, v40, 0x39e9, v59
	v_mul_f16_e32 v66, 0xbbf7, v33
	v_pk_add_f16 v35, v6, v20
	v_mul_f16_sdwa v57, v34, v68 dst_sel:DWORD dst_unused:UNUSED_PAD src0_sel:WORD_1 src1_sel:DWORD
	v_add_f16_sdwa v5, v11, v5 dst_sel:DWORD dst_unused:UNUSED_PAD src0_sel:WORD_1 src1_sel:DWORD
	v_add_f16_e32 v1, v8, v1
	v_fma_f16 v8, v49, 0x2de8, -v66
	s_waitcnt lgkmcnt(1)
	v_pk_add_f16 v36, v21, v10 neg_lo:[0,1] neg_hi:[0,1]
	v_lshrrev_b32_e32 v48, 16, v35
	v_mul_f16_e32 v67, 0xba62, v34
	v_pk_add_f16 v37, v10, v21
	v_fmamk_f16 v17, v35, 0x3722, v57
	v_add_f16_e32 v5, v8, v5
	v_mul_f16_sdwa v60, v36, v62 dst_sel:DWORD dst_unused:UNUSED_PAD src0_sel:WORD_1 src1_sel:DWORD
	v_fma_f16 v8, v48, 0xb8d2, -v67
	v_pk_add_f16 v38, v22, v9 neg_lo:[0,1] neg_hi:[0,1]
	v_lshrrev_b32_e32 v50, 16, v37
	v_mul_f16_e32 v69, 0xb1e1, v36
	v_pk_add_f16 v41, v9, v22
	v_add_f16_e32 v1, v17, v1
	v_fmamk_f16 v17, v37, 0x2de8, v60
	v_mul_f16_sdwa v61, v38, v103 dst_sel:DWORD dst_unused:UNUSED_PAD src0_sel:WORD_1 src1_sel:DWORD
	v_add_f16_e32 v5, v8, v5
	v_fma_f16 v8, v50, 0xbbdd, -v69
	s_waitcnt lgkmcnt(0)
	v_pk_add_f16 v42, v15, v14 neg_lo:[0,1] neg_hi:[0,1]
	v_lshrrev_b32_e32 v52, 16, v41
	v_mul_f16_e32 v91, 0x3836, v38
	v_pk_add_f16 v45, v14, v15
	v_add_f16_e32 v1, v17, v1
	v_fmamk_f16 v27, v41, 0xb461, v61
	v_mul_f16_sdwa v63, v42, v92 dst_sel:DWORD dst_unused:UNUSED_PAD src0_sel:WORD_1 src1_sel:DWORD
	v_add_f16_e32 v5, v8, v5
	v_fma_f16 v8, v52, 0xbacd, -v91
	v_lshrrev_b32_e32 v53, 16, v45
	v_mul_f16_e32 v87, 0x3bb2, v42
	v_pk_add_f16 v43, v16, v13 neg_lo:[0,1] neg_hi:[0,1]
	v_pk_add_f16 v46, v13, v16
	v_add_f16_e32 v1, v27, v1
	v_fmamk_f16 v27, v45, 0xb8d2, v63
	v_add_f16_e32 v5, v8, v5
	v_fma_f16 v8, v53, 0xb461, -v87
	v_mul_f16_sdwa v65, v43, v70 dst_sel:DWORD dst_unused:UNUSED_PAD src0_sel:WORD_1 src1_sel:DWORD
	v_lshrrev_b32_e32 v54, 16, v46
	v_mul_f16_e32 v84, 0x3b29, v43
	v_add_f16_e32 v1, v27, v1
	v_add_f16_e32 v5, v8, v5
	v_fmamk_f16 v8, v46, 0xbacd, v65
	v_pk_mul_f16 v71, 0x3b7639e9, v39
	v_fma_f16 v27, v54, 0x3722, -v84
	ds_read2_b32 v[17:18], v25 offset0:80 offset1:170
	v_pk_mul_f16 v72, 0x3722b8d2, v35
	v_add_f16_e32 v8, v8, v1
	v_pk_fma_f16 v75, 0xb964b5c8, v32, v71 op_sel:[0,0,1] op_sel_hi:[1,1,0] neg_lo:[0,1,0] neg_hi:[0,1,0]
	v_add_f16_e32 v1, v27, v5
	v_pk_mul_f16 v5, 0x39e92de8, v40
	v_pk_fma_f16 v77, 0xb964b5c8, v32, v71 op_sel:[0,0,1] op_sel_hi:[1,1,0]
	v_pk_mul_f16 v73, 0x2de8bbdd, v37
	v_pk_fma_f16 v71, 0xba62bb29, v34, v72 op_sel:[0,0,1] op_sel_hi:[1,1,0] neg_lo:[0,1,0] neg_hi:[0,1,0]
	v_pk_fma_f16 v76, 0xba62bb29, v34, v72 op_sel:[0,0,1] op_sel_hi:[1,1,0]
	v_pk_fma_f16 v79, 0xbbf7b964, v33, v5 op_sel:[0,0,1] op_sel_hi:[1,1,0] neg_lo:[0,1,0] neg_hi:[0,1,0]
	v_pk_fma_f16 v80, 0xbbf7b964, v33, v5 op_sel:[0,0,1] op_sel_hi:[1,1,0]
	v_add_f16_sdwa v5, v11, v75 dst_sel:DWORD dst_unused:UNUSED_PAD src0_sel:WORD_1 src1_sel:DWORD
	v_add_f16_sdwa v74, v11, v77 dst_sel:DWORD dst_unused:UNUSED_PAD src0_sel:DWORD src1_sel:WORD_1
	v_pk_fma_f16 v78, 0xb1e1bbf7, v36, v73 op_sel:[0,0,1] op_sel_hi:[1,1,0] neg_lo:[0,1,0] neg_hi:[0,1,0]
	v_pk_mul_f16 v72, 0xb461bacd, v41
	v_pk_fma_f16 v81, 0xb1e1bbf7, v36, v73 op_sel:[0,0,1] op_sel_hi:[1,1,0]
	v_add_f16_e32 v5, v79, v5
	v_add_f16_sdwa v74, v80, v74 dst_sel:DWORD dst_unused:UNUSED_PAD src0_sel:WORD_1 src1_sel:DWORD
	v_pk_mul_f16 v82, 0xb8d2b461, v45
	v_pk_fma_f16 v73, 0x3836bbb2, v38, v72 op_sel:[0,0,1] op_sel_hi:[1,1,0] neg_lo:[0,1,0] neg_hi:[0,1,0]
	s_waitcnt lgkmcnt(0)
	v_pk_add_f16 v47, v18, v17
	v_add_f16_e32 v5, v71, v5
	v_add_f16_sdwa v83, v76, v74 dst_sel:DWORD dst_unused:UNUSED_PAD src0_sel:WORD_1 src1_sel:DWORD
	v_pk_fma_f16 v74, 0x3836bbb2, v38, v72 op_sel:[0,0,1] op_sel_hi:[1,1,0]
	v_pk_add_f16 v44, v17, v18 neg_lo:[0,1] neg_hi:[0,1]
	v_pk_fma_f16 v72, 0x3bb2ba62, v42, v82 op_sel:[0,0,1] op_sel_hi:[1,1,0] neg_lo:[0,1,0] neg_hi:[0,1,0]
	v_add_f16_e32 v5, v78, v5
	v_add_f16_sdwa v88, v81, v83 dst_sel:DWORD dst_unused:UNUSED_PAD src0_sel:WORD_1 src1_sel:DWORD
	v_pk_mul_f16 v86, 0xbacd3722, v46
	v_pk_fma_f16 v82, 0x3bb2ba62, v42, v82 op_sel:[0,0,1] op_sel_hi:[1,1,0]
	v_lshrrev_b32_e32 v55, 16, v47
	v_add_f16_e32 v5, v73, v5
	v_add_f16_sdwa v89, v74, v88 dst_sel:DWORD dst_unused:UNUSED_PAD src0_sel:WORD_1 src1_sel:DWORD
	v_mul_f16_e32 v85, 0x35c8, v44
	v_pk_fma_f16 v83, 0x3b29b836, v43, v86 op_sel:[0,0,1] op_sel_hi:[1,1,0] neg_lo:[0,1,0] neg_hi:[0,1,0]
	v_mul_f16_sdwa v90, v44, v104 dst_sel:DWORD dst_unused:UNUSED_PAD src0_sel:WORD_1 src1_sel:DWORD
	v_add_f16_e32 v5, v72, v5
	v_pk_mul_f16 v93, 0xbbdd3b76, v47
	v_pk_fma_f16 v88, 0x3b29b836, v43, v86 op_sel:[0,0,1] op_sel_hi:[1,1,0]
	v_add_f16_sdwa v94, v82, v89 dst_sel:DWORD dst_unused:UNUSED_PAD src0_sel:WORD_1 src1_sel:DWORD
	v_fma_f16 v27, v55, 0x3b76, -v85
	v_fmamk_f16 v95, v47, 0xbbdd, v90
	v_add_f16_e32 v96, v83, v5
	v_pk_fma_f16 v86, 0x35c8b1e1, v44, v93 op_sel:[0,0,1] op_sel_hi:[1,1,0] neg_lo:[0,1,0] neg_hi:[0,1,0]
	v_pk_fma_f16 v89, 0x35c8b1e1, v44, v93 op_sel:[0,0,1] op_sel_hi:[1,1,0]
	v_add_f16_sdwa v93, v88, v94 dst_sel:DWORD dst_unused:UNUSED_PAD src0_sel:WORD_1 src1_sel:DWORD
	v_add_f16_e32 v1, v27, v1
	v_add_f16_e32 v5, v95, v8
	;; [unrolled: 1-line block ×3, first 2 shown]
	v_add_f16_sdwa v8, v89, v93 dst_sel:DWORD dst_unused:UNUSED_PAD src0_sel:WORD_1 src1_sel:DWORD
	s_barrier
	buffer_gl0_inv
	v_cmpx_gt_u32_e32 0x5a, v0
	s_cbranch_execz .LBB0_21
; %bb.20:
	v_mul_f16_e32 v101, 0xb836, v32
	v_mul_f16_e32 v99, 0x3b29, v33
	;; [unrolled: 1-line block ×4, first 2 shown]
	v_mul_f16_sdwa v100, v32, v70 dst_sel:DWORD dst_unused:UNUSED_PAD src0_sel:WORD_1 src1_sel:DWORD
	v_fmamk_f16 v97, v51, 0xbacd, v101
	v_fmamk_f16 v106, v49, 0x3722, v99
	v_mov_b32_e32 v117, 0x3b29
	v_fmamk_f16 v108, v48, 0x2de8, v98
	v_mul_f16_e32 v95, 0xb5c8, v38
	v_add_f16_sdwa v107, v11, v97 dst_sel:DWORD dst_unused:UNUSED_PAD src0_sel:WORD_1 src1_sel:DWORD
	v_fmamk_f16 v109, v50, 0xb8d2, v96
	v_mul_f16_sdwa v110, v33, v117 dst_sel:DWORD dst_unused:UNUSED_PAD src0_sel:WORD_1 src1_sel:DWORD
	v_mul_f16_e32 v94, 0xb1e1, v42
	v_mul_f16_sdwa v97, v34, v62 dst_sel:DWORD dst_unused:UNUSED_PAD src0_sel:WORD_1 src1_sel:DWORD
	v_add_f16_e32 v106, v106, v107
	v_fma_f16 v107, v39, 0xbacd, -v100
	v_mov_b32_e32 v105, 0x3a62
	v_fma_f16 v111, v40, 0x3722, -v110
	v_fmamk_f16 v113, v52, 0x3b76, v95
	v_add_f16_e32 v108, v108, v106
	v_add_f16_e32 v107, v11, v107
	v_mul_f16_e32 v93, 0x3964, v43
	v_pk_add_f16 v12, v11, v12
	v_mul_f16_sdwa v112, v36, v105 dst_sel:DWORD dst_unused:UNUSED_PAD src0_sel:WORD_1 src1_sel:DWORD
	v_add_f16_e32 v108, v109, v108
	v_fma_f16 v109, v35, 0x2de8, -v97
	v_add_f16_e32 v107, v111, v107
	v_fmamk_f16 v111, v53, 0xbbdd, v94
	v_mul_f16_sdwa v106, v38, v56 dst_sel:DWORD dst_unused:UNUSED_PAD src0_sel:WORD_1 src1_sel:DWORD
	v_add_f16_e32 v108, v113, v108
	v_pk_add_f16 v12, v12, v19
	v_fma_f16 v19, v37, 0xb8d2, -v112
	v_add_f16_e32 v107, v109, v107
	v_fmamk_f16 v109, v54, 0x39e9, v93
	v_add_f16_e32 v111, v111, v108
	v_mul_f16_e32 v108, 0xbbb2, v44
	v_mul_f16_e32 v118, 0xba62, v32
	v_fma_f16 v113, v41, 0x3b76, -v106
	v_add_f16_e32 v19, v19, v107
	v_pk_add_f16 v12, v12, v20
	v_add_f16_e32 v20, v109, v111
	v_fmamk_f16 v107, v55, 0xb461, v108
	v_mul_f16_sdwa v111, v42, v104 dst_sel:DWORD dst_unused:UNUSED_PAD src0_sel:WORD_1 src1_sel:DWORD
	v_fmamk_f16 v109, v51, 0xb8d2, v118
	v_mul_f16_e32 v119, 0x3bb2, v33
	v_add_f16_e32 v19, v113, v19
	v_pk_add_f16 v21, v12, v21
	v_add_f16_e32 v12, v107, v20
	v_mov_b32_e32 v120, 0x3964
	v_fma_f16 v20, v45, 0xbbdd, -v111
	v_add_f16_sdwa v107, v11, v109 dst_sel:DWORD dst_unused:UNUSED_PAD src0_sel:WORD_1 src1_sel:DWORD
	v_fmamk_f16 v109, v49, 0xb461, v119
	v_mul_f16_e32 v115, 0xb5c8, v34
	v_pk_add_f16 v21, v21, v22
	v_mul_f16_sdwa v113, v43, v120 dst_sel:DWORD dst_unused:UNUSED_PAD src0_sel:WORD_1 src1_sel:DWORD
	v_add_f16_e32 v19, v20, v19
	v_add_f16_e32 v20, v109, v107
	v_fmamk_f16 v22, v48, 0x3b76, v115
	v_mul_f16_e32 v116, 0xb836, v36
	v_mul_f16_sdwa v121, v32, v92 dst_sel:DWORD dst_unused:UNUSED_PAD src0_sel:WORD_1 src1_sel:DWORD
	v_mov_b32_e32 v122, 0x3bb2
	v_fma_f16 v107, v46, 0x39e9, -v113
	v_add_f16_e32 v20, v22, v20
	v_fmamk_f16 v22, v50, 0xbacd, v116
	v_mul_f16_e32 v114, 0x3bf7, v38
	v_fma_f16 v109, v39, 0xb8d2, -v121
	v_mul_f16_sdwa v123, v33, v122 dst_sel:DWORD dst_unused:UNUSED_PAD src0_sel:WORD_1 src1_sel:DWORD
	v_add_f16_e32 v19, v107, v19
	v_add_f16_e32 v20, v22, v20
	v_fmamk_f16 v22, v52, 0x2de8, v114
	v_add_f16_e32 v107, v11, v109
	v_fma_f16 v124, v40, 0xb461, -v123
	v_mul_f16_sdwa v125, v34, v56 dst_sel:DWORD dst_unused:UNUSED_PAD src0_sel:WORD_1 src1_sel:DWORD
	v_mul_f16_e32 v126, 0xb964, v42
	v_add_f16_e32 v20, v22, v20
	v_mov_b32_e32 v127, 0x3bf7
	v_add_f16_e32 v22, v124, v107
	v_fma_f16 v107, v35, 0x3b76, -v125
	v_mul_f16_sdwa v124, v36, v70 dst_sel:DWORD dst_unused:UNUSED_PAD src0_sel:WORD_1 src1_sel:DWORD
	v_fmamk_f16 v128, v53, 0x39e9, v126
	v_mul_f16_e32 v129, 0xb1e1, v43
	v_mul_f16_sdwa v130, v38, v127 dst_sel:DWORD dst_unused:UNUSED_PAD src0_sel:WORD_1 src1_sel:DWORD
	v_add_f16_e32 v22, v107, v22
	v_fma_f16 v107, v37, 0xbacd, -v124
	v_add_f16_e32 v20, v128, v20
	v_fmamk_f16 v128, v54, 0xbbdd, v129
	v_mul_f16_sdwa v109, v44, v103 dst_sel:DWORD dst_unused:UNUSED_PAD src0_sel:WORD_1 src1_sel:DWORD
	v_mul_f16_sdwa v132, v42, v102 dst_sel:DWORD dst_unused:UNUSED_PAD src0_sel:WORD_1 src1_sel:DWORD
	v_add_f16_e32 v22, v107, v22
	v_fma_f16 v107, v41, 0x2de8, -v130
	v_add_f16_e32 v20, v128, v20
	v_mul_f16_e32 v128, 0x3b29, v44
	v_mul_f16_e32 v133, 0xbbb2, v32
	v_fma_f16 v131, v47, 0xb461, -v109
	v_add_f16_e32 v22, v107, v22
	v_fma_f16 v102, v45, 0x39e9, -v132
	v_mul_f16_sdwa v134, v43, v104 dst_sel:DWORD dst_unused:UNUSED_PAD src0_sel:WORD_1 src1_sel:DWORD
	v_fmamk_f16 v107, v55, 0x3722, v128
	v_fmamk_f16 v135, v51, 0xb461, v133
	v_mul_f16_e32 v136, 0x3836, v33
	v_add_f16_e32 v22, v102, v22
	v_fma_f16 v102, v46, 0xbbdd, -v134
	v_add_f16_e32 v19, v131, v19
	v_add_f16_sdwa v131, v11, v135 dst_sel:DWORD dst_unused:UNUSED_PAD src0_sel:WORD_1 src1_sel:DWORD
	v_fmamk_f16 v135, v49, 0xbacd, v136
	v_add_f16_e32 v20, v107, v20
	v_mul_f16_e32 v137, 0x3964, v34
	v_mul_f16_sdwa v107, v44, v117 dst_sel:DWORD dst_unused:UNUSED_PAD src0_sel:WORD_1 src1_sel:DWORD
	v_mul_f16_sdwa v117, v32, v103 dst_sel:DWORD dst_unused:UNUSED_PAD src0_sel:WORD_1 src1_sel:DWORD
	v_mov_b32_e32 v103, 0x3836
	v_add_f16_e32 v22, v102, v22
	v_add_f16_e32 v102, v135, v131
	v_fmamk_f16 v131, v48, 0x39e9, v137
	v_mul_f16_e32 v135, 0xbb29, v36
	v_fma_f16 v139, v39, 0xb461, -v117
	v_mul_f16_sdwa v140, v33, v103 dst_sel:DWORD dst_unused:UNUSED_PAD src0_sel:WORD_1 src1_sel:DWORD
	v_mul_f16_sdwa v142, v34, v120 dst_sel:DWORD dst_unused:UNUSED_PAD src0_sel:WORD_1 src1_sel:DWORD
	v_add_f16_e32 v102, v131, v102
	v_fmamk_f16 v103, v50, 0x3722, v135
	v_mul_f16_e32 v131, 0xb1e1, v38
	v_add_f16_e32 v139, v11, v139
	v_fma_f16 v141, v40, 0xbacd, -v140
	v_mul_f16_e32 v143, 0x3bf7, v42
	v_add_f16_e32 v102, v103, v102
	v_fmamk_f16 v103, v52, 0xbbdd, v131
	v_mul_f16_sdwa v144, v36, v68 dst_sel:DWORD dst_unused:UNUSED_PAD src0_sel:WORD_1 src1_sel:DWORD
	v_add_f16_e32 v139, v141, v139
	v_fma_f16 v141, v35, 0x39e9, -v142
	v_fma_f16 v138, v47, 0x3722, -v107
	v_add_f16_e32 v102, v103, v102
	v_fmamk_f16 v103, v53, 0x2de8, v143
	v_mul_f16_e32 v145, 0xb5c8, v43
	v_add_f16_e32 v139, v141, v139
	v_fma_f16 v141, v37, 0x3722, -v144
	v_mul_f16_e32 v147, 0xbbf7, v32
	v_mul_f16_sdwa v146, v38, v104 dst_sel:DWORD dst_unused:UNUSED_PAD src0_sel:WORD_1 src1_sel:DWORD
	v_add_f16_e32 v102, v103, v102
	v_fmamk_f16 v103, v54, 0x3b76, v145
	v_add_f16_e32 v22, v138, v22
	v_add_f16_e32 v138, v141, v139
	v_fmamk_f16 v139, v51, 0x2de8, v147
	v_mul_f16_e32 v141, 0xb1e1, v33
	v_fma_f16 v148, v41, 0xbbdd, -v146
	v_mul_f16_sdwa v127, v42, v127 dst_sel:DWORD dst_unused:UNUSED_PAD src0_sel:WORD_1 src1_sel:DWORD
	v_add_f16_e32 v102, v103, v102
	v_add_f16_sdwa v103, v11, v139 dst_sel:DWORD dst_unused:UNUSED_PAD src0_sel:WORD_1 src1_sel:DWORD
	v_fmamk_f16 v139, v49, 0xbbdd, v141
	v_mul_f16_e32 v149, 0x3bb2, v34
	v_mul_f16_e32 v150, 0xba62, v44
	v_add_f16_e32 v138, v148, v138
	v_fma_f16 v148, v45, 0x2de8, -v127
	v_add_f16_e32 v103, v139, v103
	v_fmamk_f16 v139, v48, 0xb461, v149
	v_mul_f16_e32 v151, 0x35c8, v36
	v_mul_f16_sdwa v152, v43, v56 dst_sel:DWORD dst_unused:UNUSED_PAD src0_sel:WORD_1 src1_sel:DWORD
	v_fmamk_f16 v153, v55, 0xb8d2, v150
	v_add_f16_e32 v138, v148, v138
	v_add_f16_e32 v103, v139, v103
	v_fmamk_f16 v139, v50, 0x3b76, v151
	v_mul_f16_e32 v148, 0xbb29, v38
	v_fma_f16 v154, v46, 0x3b76, -v152
	v_mul_f16_sdwa v155, v44, v92 dst_sel:DWORD dst_unused:UNUSED_PAD src0_sel:WORD_1 src1_sel:DWORD
	v_add_f16_e32 v102, v153, v102
	v_add_f16_e32 v103, v139, v103
	v_fmamk_f16 v139, v52, 0x3722, v148
	v_mul_f16_e32 v153, 0xb836, v42
	v_add_f16_e32 v138, v154, v138
	v_mul_f16_sdwa v154, v32, v62 dst_sel:DWORD dst_unused:UNUSED_PAD src0_sel:WORD_1 src1_sel:DWORD
	v_fma_f16 v156, v47, 0xb8d2, -v155
	v_add_f16_e32 v139, v139, v103
	v_fmamk_f16 v157, v53, 0xbacd, v153
	v_mul_f16_e32 v158, 0x3a62, v43
	v_fma_f16 v159, v39, 0x2de8, -v154
	v_mul_f16_sdwa v160, v33, v104 dst_sel:DWORD dst_unused:UNUSED_PAD src0_sel:WORD_1 src1_sel:DWORD
	v_add_f16_e32 v103, v156, v138
	v_add_f16_e32 v104, v157, v139
	v_fmamk_f16 v138, v54, 0xb8d2, v158
	v_add_f16_e32 v139, v11, v159
	v_fma_f16 v156, v40, 0xbbdd, -v160
	v_mul_f16_sdwa v157, v34, v122 dst_sel:DWORD dst_unused:UNUSED_PAD src0_sel:WORD_1 src1_sel:DWORD
	v_mov_b32_e32 v159, 0x35c8
	v_add_f16_e32 v104, v138, v104
	v_mul_f16_e32 v138, 0xbb29, v32
	v_add_f16_e32 v139, v156, v139
	v_fma_f16 v156, v35, 0xb461, -v157
	v_mul_f16_sdwa v159, v36, v159 dst_sel:DWORD dst_unused:UNUSED_PAD src0_sel:WORD_1 src1_sel:DWORD
	v_mul_f16_e32 v163, 0xba62, v33
	v_fmamk_f16 v162, v51, 0x3722, v138
	v_mul_f16_sdwa v164, v38, v68 dst_sel:DWORD dst_unused:UNUSED_PAD src0_sel:WORD_1 src1_sel:DWORD
	v_add_f16_e32 v139, v156, v139
	v_fma_f16 v156, v37, 0x3b76, -v159
	v_fmamk_f16 v165, v49, 0xb8d2, v163
	v_add_f16_sdwa v162, v11, v162 dst_sel:DWORD dst_unused:UNUSED_PAD src0_sel:WORD_1 src1_sel:DWORD
	v_mul_f16_e32 v166, 0x31e1, v34
	v_mul_f16_sdwa v167, v42, v70 dst_sel:DWORD dst_unused:UNUSED_PAD src0_sel:WORD_1 src1_sel:DWORD
	v_add_f16_e32 v139, v156, v139
	v_fma_f16 v156, v41, 0x3722, -v164
	v_add_f16_e32 v162, v165, v162
	v_fmamk_f16 v165, v48, 0xbbdd, v166
	v_mul_f16_e32 v168, 0x3bb2, v36
	v_mul_f16_e32 v161, 0x3964, v44
	v_add_f16_e32 v139, v156, v139
	v_fma_f16 v156, v45, 0xbacd, -v167
	v_mul_f16_sdwa v105, v43, v105 dst_sel:DWORD dst_unused:UNUSED_PAD src0_sel:WORD_1 src1_sel:DWORD
	v_add_f16_e32 v162, v165, v162
	v_fmamk_f16 v165, v50, 0xb461, v168
	v_mul_f16_e32 v169, 0x3964, v38
	v_add_f16_e32 v139, v156, v139
	v_fma_f16 v156, v46, 0xb8d2, -v105
	v_mul_f16_sdwa v170, v44, v120 dst_sel:DWORD dst_unused:UNUSED_PAD src0_sel:WORD_1 src1_sel:DWORD
	v_add_f16_e32 v162, v165, v162
	v_fmamk_f16 v165, v52, 0x39e9, v169
	v_fmamk_f16 v171, v55, 0x39e9, v161
	v_mul_f16_e32 v172, 0xb5c8, v42
	v_add_f16_e32 v139, v156, v139
	v_fma_f16 v156, v47, 0x39e9, -v170
	v_add_f16_e32 v162, v165, v162
	v_mul_f16_sdwa v165, v32, v68 dst_sel:DWORD dst_unused:UNUSED_PAD src0_sel:WORD_1 src1_sel:DWORD
	v_fmamk_f16 v173, v53, 0x3b76, v172
	v_add_f16_e32 v68, v171, v104
	v_mul_f16_e32 v171, 0xbbf7, v43
	v_add_f16_e32 v104, v156, v139
	v_fma_f16 v139, v39, 0x3722, -v165
	v_add_f16_e32 v156, v173, v162
	v_mul_f16_sdwa v92, v33, v92 dst_sel:DWORD dst_unused:UNUSED_PAD src0_sel:WORD_1 src1_sel:DWORD
	v_fmamk_f16 v162, v54, 0x2de8, v171
	v_mul_f16_e32 v173, 0x39e9, v51
	v_mov_b32_e32 v174, 0x31e1
	v_add_f16_e32 v139, v11, v139
	v_fma_f16 v175, v40, 0xb8d2, -v92
	v_mul_f16_e32 v176, 0x2de8, v49
	v_add_f16_e32 v64, v64, v173
	v_add_f16_e32 v156, v162, v156
	v_mul_f16_sdwa v162, v34, v174 dst_sel:DWORD dst_unused:UNUSED_PAD src0_sel:WORD_1 src1_sel:DWORD
	v_add_f16_e32 v139, v175, v139
	v_add_f16_e32 v66, v66, v176
	v_add_f16_sdwa v64, v11, v64 dst_sel:DWORD dst_unused:UNUSED_PAD src0_sel:WORD_1 src1_sel:DWORD
	v_mul_f16_e32 v173, 0xb8d2, v48
	v_fma_f16 v174, v35, 0xbbdd, -v162
	v_mul_f16_sdwa v122, v36, v122 dst_sel:DWORD dst_unused:UNUSED_PAD src0_sel:WORD_1 src1_sel:DWORD
	v_mul_f16_sdwa v120, v38, v120 dst_sel:DWORD dst_unused:UNUSED_PAD src0_sel:WORD_1 src1_sel:DWORD
	v_add_f16_e32 v64, v66, v64
	v_add_f16_e32 v66, v67, v173
	v_add_f16_e32 v67, v174, v139
	v_mul_f16_e32 v139, 0xbbdd, v50
	v_fma_f16 v173, v37, 0xb461, -v122
	v_mul_f16_sdwa v56, v42, v56 dst_sel:DWORD dst_unused:UNUSED_PAD src0_sel:WORD_1 src1_sel:DWORD
	v_add_f16_e32 v64, v66, v64
	v_mul_f16_sdwa v62, v43, v62 dst_sel:DWORD dst_unused:UNUSED_PAD src0_sel:WORD_1 src1_sel:DWORD
	v_add_f16_e32 v66, v69, v139
	v_mul_f16_e32 v69, 0xbacd, v52
	v_add_f16_e32 v67, v173, v67
	v_fma_f16 v139, v41, 0x39e9, -v120
	v_fmac_f16_e32 v100, 0xbacd, v39
	v_add_f16_e32 v64, v66, v64
	v_mul_f16_e32 v66, 0x3b76, v39
	v_add_f16_e32 v69, v91, v69
	v_mul_f16_e32 v91, 0x39e9, v40
	v_add_f16_e32 v67, v139, v67
	v_fmac_f16_e32 v110, 0x3722, v40
	v_sub_f16_e32 v58, v66, v58
	v_mul_f16_e32 v66, 0xb461, v53
	v_sub_f16_e32 v59, v91, v59
	v_add_f16_e32 v64, v69, v64
	v_fma_f16 v69, v45, 0x3b76, -v56
	v_add_f16_e32 v58, v11, v58
	v_add_f16_e32 v66, v87, v66
	v_mul_f16_e32 v87, 0x3722, v35
	v_fmac_f16_e32 v97, 0x2de8, v35
	v_add_f16_e32 v67, v69, v67
	v_add_f16_e32 v58, v59, v58
	v_mul_f16_e32 v59, 0x3722, v54
	v_sub_f16_e32 v57, v87, v57
	v_mul_f16_e32 v69, 0x2de8, v37
	v_add_f16_e32 v64, v66, v64
	v_fma_f16 v87, v46, 0x2de8, -v62
	v_add_f16_e32 v59, v84, v59
	v_add_f16_e32 v57, v57, v58
	v_sub_f16_e32 v58, v69, v60
	v_mul_f16_e32 v66, 0xb461, v41
	v_add_f16_e32 v60, v87, v67
	v_add_f16_e32 v59, v59, v64
	v_mul_f16_sdwa v64, v44, v70 dst_sel:DWORD dst_unused:UNUSED_PAD src0_sel:WORD_1 src1_sel:DWORD
	v_add_f16_e32 v57, v58, v57
	v_sub_f16_e32 v58, v66, v61
	v_mul_f16_e32 v61, 0xb8d2, v45
	v_fma_f16 v69, v51, 0xbacd, -v101
	v_fma_f16 v66, v47, 0xbacd, -v64
	v_add_f16_e32 v70, v11, v100
	v_add_f16_e32 v57, v58, v57
	v_sub_f16_e32 v58, v61, v63
	v_mul_f16_e32 v61, 0xbacd, v46
	v_add_f16_e32 v60, v66, v60
	v_add_f16_sdwa v63, v11, v69 dst_sel:DWORD dst_unused:UNUSED_PAD src0_sel:WORD_1 src1_sel:DWORD
	v_fma_f16 v66, v49, 0x3722, -v99
	v_add_f16_e32 v57, v58, v57
	v_sub_f16_e32 v58, v61, v65
	v_fma_f16 v65, v48, 0x2de8, -v98
	v_add_f16_e32 v70, v110, v70
	v_add_f16_e32 v63, v66, v63
	v_fmac_f16_e32 v112, 0xb8d2, v37
	v_add_f16_e32 v57, v58, v57
	v_mul_f16_e32 v58, 0xbbdd, v47
	v_add_f16_e32 v70, v97, v70
	v_add_f16_e32 v63, v65, v63
	v_fma_f16 v65, v50, 0xb8d2, -v96
	v_mul_f16_e32 v67, 0x3b76, v55
	v_bfi_b32 v61, 0xffff, v77, v75
	v_sub_f16_e32 v58, v58, v90
	v_add_f16_e32 v70, v112, v70
	v_add_f16_e32 v63, v65, v63
	v_fma_f16 v65, v52, 0x3b76, -v95
	v_fmac_f16_e32 v106, 0x3b76, v41
	v_fma_f16 v75, v51, 0xb8d2, -v118
	v_add_f16_e32 v67, v85, v67
	v_add_f16_e32 v57, v58, v57
	v_add_f16_e32 v63, v65, v63
	v_fma_f16 v65, v53, 0xbbdd, -v94
	v_fmac_f16_e32 v121, 0xb8d2, v39
	v_add_f16_e32 v59, v67, v59
	v_bfi_b32 v67, 0xffff, v76, v71
	v_fmac_f16_e32 v123, 0xb461, v40
	v_add_f16_e32 v63, v65, v63
	v_fma_f16 v65, v54, 0x39e9, -v93
	v_add_f16_e32 v76, v11, v121
	v_fmac_f16_e32 v125, 0x3b76, v35
	v_fmac_f16_e32 v124, 0xbacd, v37
	v_fma_f16 v77, v49, 0xbacd, -v136
	v_add_f16_e32 v58, v65, v63
	v_add_f16_e32 v63, v106, v70
	v_add_f16_sdwa v65, v11, v75 dst_sel:DWORD dst_unused:UNUSED_PAD src0_sel:WORD_1 src1_sel:DWORD
	v_fma_f16 v70, v49, 0xb461, -v119
	v_fma_f16 v75, v55, 0xb461, -v108
	v_fmac_f16_e32 v130, 0x2de8, v41
	v_fmac_f16_e32 v132, 0x39e9, v45
	;; [unrolled: 1-line block ×3, first 2 shown]
	v_add_f16_e32 v65, v70, v65
	v_fma_f16 v70, v48, 0x3b76, -v115
	v_add_f16_e32 v58, v75, v58
	v_add_f16_e32 v75, v123, v76
	v_fma_f16 v76, v51, 0xb461, -v133
	v_pk_add_f16 v15, v21, v15
	v_add_f16_e32 v65, v70, v65
	v_fma_f16 v70, v50, 0xbacd, -v116
	v_add_f16_e32 v75, v125, v75
	v_add_f16_sdwa v76, v11, v76 dst_sel:DWORD dst_unused:UNUSED_PAD src0_sel:WORD_1 src1_sel:DWORD
	v_bfi_b32 v66, 0xffff, v80, v79
	v_fma_f16 v79, v49, 0xbbdd, -v141
	v_add_f16_e32 v65, v70, v65
	v_fma_f16 v70, v52, 0x2de8, -v114
	v_add_f16_e32 v75, v124, v75
	v_add_f16_e32 v76, v77, v76
	v_fma_f16 v77, v48, 0x39e9, -v137
	v_fma_f16 v49, v49, 0xb8d2, -v163
	v_add_f16_e32 v65, v70, v65
	v_fma_f16 v70, v53, 0x39e9, -v126
	v_add_f16_e32 v75, v130, v75
	v_add_f16_e32 v76, v77, v76
	v_fma_f16 v77, v50, 0x3722, -v135
	v_pk_add_f16 v15, v15, v16
	v_add_f16_e32 v65, v70, v65
	v_fma_f16 v70, v54, 0xbbdd, -v129
	v_add_f16_e32 v75, v132, v75
	v_add_f16_e32 v76, v77, v76
	v_fma_f16 v77, v52, 0xbbdd, -v131
	v_pk_add_f16 v15, v15, v17
	v_add_f16_e32 v65, v70, v65
	v_fma_f16 v70, v55, 0x3722, -v128
	v_fmac_f16_e32 v154, 0x2de8, v39
	v_fma_f16 v17, v50, 0xb461, -v168
	v_pk_add_f16 v15, v15, v18
	v_fmac_f16_e32 v160, 0xbbdd, v40
	v_add_f16_e32 v65, v70, v65
	v_add_f16_e32 v70, v134, v75
	;; [unrolled: 1-line block ×3, first 2 shown]
	v_fma_f16 v76, v53, 0x2de8, -v143
	v_fma_f16 v77, v51, 0x2de8, -v147
	;; [unrolled: 1-line block ×3, first 2 shown]
	v_add_f16_e32 v80, v11, v154
	v_pk_add_f16 v13, v15, v13
	v_add_f16_e32 v75, v76, v75
	v_fma_f16 v76, v54, 0x3b76, -v145
	v_add_f16_sdwa v77, v11, v77 dst_sel:DWORD dst_unused:UNUSED_PAD src0_sel:WORD_1 src1_sel:DWORD
	v_add_f16_sdwa v51, v11, v51 dst_sel:DWORD dst_unused:UNUSED_PAD src0_sel:WORD_1 src1_sel:DWORD
	v_add_f16_e32 v80, v160, v80
	v_fmac_f16_e32 v157, 0xb461, v35
	v_add_f16_e32 v75, v76, v75
	v_fma_f16 v76, v55, 0xb8d2, -v150
	v_add_f16_e32 v77, v79, v77
	v_fma_f16 v79, v48, 0xb461, -v149
	;; [unrolled: 2-line block ×3, first 2 shown]
	v_add_f16_e32 v75, v76, v75
	v_pk_add_f16 v13, v13, v14
	v_add_f16_e32 v76, v79, v77
	v_fma_f16 v77, v50, 0x3b76, -v151
	v_add_f16_e32 v16, v48, v49
	v_alignbit_b32 v79, v11, v11, 16
	v_mul_f16_e32 v175, 0xb836, v44
	v_add_f16_e32 v80, v157, v80
	v_add_f16_e32 v76, v77, v76
	v_fma_f16 v77, v52, 0x3722, -v148
	v_add_f16_e32 v16, v17, v16
	v_fma_f16 v17, v52, 0x39e9, -v169
	v_fmac_f16_e32 v159, 0x3b76, v37
	v_pk_add_f16 v9, v13, v9
	v_add_f16_e32 v76, v77, v76
	v_fma_f16 v77, v53, 0xbacd, -v153
	v_add_f16_e32 v15, v17, v16
	v_fma_f16 v16, v53, 0x3b76, -v172
	v_pk_add_f16 v13, v79, v61
	v_add_f16_e32 v80, v159, v80
	v_add_f16_e32 v76, v77, v76
	v_fma_f16 v77, v54, 0xb8d2, -v158
	v_add_f16_e32 v15, v16, v15
	v_fma_f16 v16, v54, 0x2de8, -v171
	v_fmac_f16_e32 v164, 0x3722, v41
	v_pk_add_f16 v9, v9, v10
	v_add_f16_e32 v76, v77, v76
	v_fma_f16 v77, v55, 0x39e9, -v161
	v_add_f16_e32 v15, v16, v15
	v_fma_f16 v10, v55, 0xbacd, -v175
	v_pk_add_f16 v13, v66, v13
	v_fmac_f16_e32 v167, 0xbacd, v45
	v_add_f16_e32 v76, v77, v76
	v_add_f16_e32 v77, v164, v80
	v_pk_add_f16 v6, v9, v6
	v_add_f16_e32 v9, v10, v15
	v_pk_add_f16 v10, v67, v13
	v_pk_mul_f16 v13, 0xbbdd, v39 op_sel_hi:[0,1]
	v_add_f16_e32 v21, v167, v77
	v_fmac_f16_e32 v105, 0xb8d2, v46
	v_pk_mul_f16 v16, 0x3b76, v40 op_sel_hi:[0,1]
	v_fmac_f16_e32 v117, 0xb461, v39
	v_pk_fma_f16 v15, 0xb1e1, v32, v13 op_sel:[0,0,1] op_sel_hi:[0,1,0] neg_lo:[0,1,0] neg_hi:[0,1,0]
	v_pk_fma_f16 v13, 0xb1e1, v32, v13 op_sel:[0,0,1] op_sel_hi:[0,1,0]
	v_fmac_f16_e32 v165, 0x3722, v39
	v_add_f16_e32 v21, v105, v21
	v_fmac_f16_e32 v170, 0x39e9, v47
	v_pk_add_f16 v15, v79, v15
	v_pk_fma_f16 v17, 0x35c8, v33, v16 op_sel:[0,0,1] op_sel_hi:[0,1,0] neg_lo:[0,1,0] neg_hi:[0,1,0]
	v_pk_mul_f16 v18, 0xbacd, v35 op_sel_hi:[0,1]
	v_pk_add_f16 v13, v79, v13
	v_pk_fma_f16 v16, 0x35c8, v33, v16 op_sel:[0,0,1] op_sel_hi:[0,1,0]
	v_bfi_b32 v69, 0xffff, v81, v78
	v_add_f16_e32 v78, v11, v117
	v_fmac_f16_e32 v140, 0xbacd, v40
	v_add_f16_e32 v11, v11, v165
	v_fmac_f16_e32 v92, 0xb8d2, v40
	v_add_f16_e32 v14, v170, v21
	v_pk_add_f16 v15, v17, v15
	v_pk_fma_f16 v17, 0xb836, v34, v18 op_sel:[0,0,1] op_sel_hi:[0,1,0] neg_lo:[0,1,0] neg_hi:[0,1,0]
	v_pk_mul_f16 v21, 0x39e9, v37 op_sel_hi:[0,1]
	v_pk_add_f16 v13, v16, v13
	v_pk_fma_f16 v16, 0xb836, v34, v18 op_sel:[0,0,1] op_sel_hi:[0,1,0]
	v_add_f16_e32 v78, v140, v78
	v_fmac_f16_e32 v142, 0x39e9, v35
	v_add_f16_e32 v11, v92, v11
	v_fmac_f16_e32 v162, 0xbbdd, v35
	v_bfi_b32 v71, 0xffff, v74, v73
	v_pk_add_f16 v10, v69, v10
	v_pk_add_f16 v15, v17, v15
	v_pk_fma_f16 v17, 0x3964, v36, v21 op_sel:[0,0,1] op_sel_hi:[0,1,0] neg_lo:[0,1,0] neg_hi:[0,1,0]
	v_pk_mul_f16 v18, 0xb8d2, v41 op_sel_hi:[0,1]
	v_pk_add_f16 v13, v16, v13
	v_pk_fma_f16 v16, 0x3964, v36, v21 op_sel:[0,0,1] op_sel_hi:[0,1,0]
	v_add_f16_e32 v78, v142, v78
	v_fmac_f16_e32 v144, 0x3722, v37
	v_add_f16_e32 v11, v162, v11
	v_fmac_f16_e32 v122, 0xb461, v37
	v_bfi_b32 v72, 0xffff, v82, v72
	v_pk_add_f16 v6, v6, v7
	v_pk_add_f16 v10, v71, v10
	;; [unrolled: 1-line block ×3, first 2 shown]
	v_pk_fma_f16 v17, 0xba62, v38, v18 op_sel:[0,0,1] op_sel_hi:[0,1,0] neg_lo:[0,1,0] neg_hi:[0,1,0]
	v_pk_mul_f16 v21, 0x3722, v45 op_sel_hi:[0,1]
	v_pk_add_f16 v13, v16, v13
	v_pk_fma_f16 v16, 0xba62, v38, v18 op_sel:[0,0,1] op_sel_hi:[0,1,0]
	v_add_f16_e32 v78, v144, v78
	v_fmac_f16_e32 v146, 0xbbdd, v41
	v_add_f16_e32 v11, v122, v11
	v_fmac_f16_e32 v120, 0x39e9, v41
	v_bfi_b32 v73, 0xffff, v88, v83
	v_pk_add_f16 v6, v6, v31
	v_pk_add_f16 v10, v72, v10
	;; [unrolled: 1-line block ×3, first 2 shown]
	v_pk_fma_f16 v17, 0x3b29, v42, v21 op_sel:[0,0,1] op_sel_hi:[0,1,0] neg_lo:[0,1,0] neg_hi:[0,1,0]
	v_pk_mul_f16 v31, 0xb461, v46 op_sel_hi:[0,1]
	v_pk_add_f16 v13, v16, v13
	v_pk_fma_f16 v16, 0x3b29, v42, v21 op_sel:[0,0,1] op_sel_hi:[0,1,0]
	v_fmac_f16_e32 v111, 0xbbdd, v45
	v_add_f16_e32 v78, v146, v78
	v_fmac_f16_e32 v127, 0x2de8, v45
	v_add_f16_e32 v11, v120, v11
	v_fmac_f16_e32 v56, 0x3b76, v45
	v_bfi_b32 v74, 0xffff, v89, v86
	v_pk_add_f16 v10, v73, v10
	v_pk_add_f16 v15, v17, v15
	v_pk_fma_f16 v17, 0xbbb2, v43, v31 op_sel:[0,0,1] op_sel_hi:[0,1,0] neg_lo:[0,1,0] neg_hi:[0,1,0]
	v_pk_mul_f16 v21, 0x2de8, v47 op_sel_hi:[0,1]
	v_pk_add_f16 v13, v16, v13
	v_pk_fma_f16 v16, 0xbbb2, v43, v31 op_sel:[0,0,1] op_sel_hi:[0,1,0]
	v_fmamk_f16 v174, v55, 0xbacd, v175
	v_add_f16_e32 v63, v111, v63
	v_fmac_f16_e32 v113, 0x39e9, v46
	v_add_f16_e32 v78, v127, v78
	v_fmac_f16_e32 v152, 0x3b76, v46
	;; [unrolled: 2-line block ×3, first 2 shown]
	v_pk_add_f16 v10, v74, v10
	v_pk_add_f16 v15, v17, v15
	v_pk_fma_f16 v17, 0x3bf7, v44, v21 op_sel:[0,0,1] op_sel_hi:[0,1,0] neg_lo:[0,1,0] neg_hi:[0,1,0]
	v_pk_add_f16 v13, v16, v13
	v_pk_fma_f16 v16, 0x3bf7, v44, v21 op_sel:[0,0,1] op_sel_hi:[0,1,0]
	v_add_f16_e32 v156, v174, v156
	v_add_f16_e32 v63, v113, v63
	v_fmac_f16_e32 v109, 0xb461, v47
	v_fmac_f16_e32 v107, 0x3722, v47
	v_add_f16_e32 v78, v152, v78
	v_fmac_f16_e32 v155, 0xb8d2, v47
	v_add_f16_e32 v11, v62, v11
	v_fmac_f16_e32 v64, 0xbacd, v47
	v_lshl_add_u32 v7, v0, 6, v26
	v_alignbit_b32 v18, v59, v10, 16
	v_pack_b32_f16 v10, v57, v10
	v_pk_add_f16 v15, v17, v15
	v_pk_add_f16 v13, v16, v13
	v_add_f16_e32 v63, v109, v63
	v_add_f16_e32 v70, v107, v70
	v_pack_b32_f16 v31, v104, v68
	v_pack_b32_f16 v32, v60, v156
	v_add_f16_e32 v78, v155, v78
	v_pack_b32_f16 v20, v22, v20
	v_pack_b32_f16 v21, v103, v102
	v_add_f16_e32 v11, v64, v11
	v_pack_b32_f16 v12, v19, v12
	ds_write2_b32 v7, v10, v18 offset0:1 offset1:2
	ds_write2_b32 v7, v32, v31 offset0:3 offset1:4
	;; [unrolled: 1-line block ×3, first 2 shown]
	ds_write2_b32 v7, v6, v12 offset1:7
	v_alignbit_b32 v6, v15, v13, 16
	v_alignbit_b32 v10, v13, v15, 16
	v_pack_b32_f16 v12, v70, v65
	v_pack_b32_f16 v13, v63, v58
	;; [unrolled: 1-line block ×5, first 2 shown]
	v_perm_b32 v11, v1, v8, 0x5040100
	v_perm_b32 v16, v27, v5, 0x5040100
	ds_write2_b32 v7, v10, v6 offset0:8 offset1:9
	ds_write2_b32 v7, v13, v12 offset0:10 offset1:11
	;; [unrolled: 1-line block ×4, first 2 shown]
	ds_write_b32 v7, v16 offset:64
.LBB0_21:
	s_or_b32 exec_lo, exec_lo, s4
	v_and_b32_e32 v6, 0xff, v0
	v_add_nc_u32_e32 v32, 0x66, v0
	v_add_nc_u32_e32 v7, 0x198, v0
	v_mov_b32_e32 v9, 0xf0f1
	v_add_nc_u32_e32 v31, 0xcc, v0
	v_mul_lo_u16 v6, 0xf1, v6
	v_and_b32_e32 v12, 0xff, v32
	v_add_nc_u32_e32 v10, 0x132, v0
	v_mul_u32_u24_sdwa v11, v7, v9 dst_sel:DWORD dst_unused:UNUSED_PAD src0_sel:WORD_0 src1_sel:DWORD
	v_mov_b32_e32 v17, 3
	v_lshrrev_b16 v33, 12, v6
	v_mul_lo_u16 v13, 0xf1, v12
	s_waitcnt lgkmcnt(0)
	v_lshrrev_b32_e32 v11, 20, v11
	s_barrier
	v_mul_lo_u16 v6, v33, 17
	v_lshrrev_b16 v44, 12, v13
	buffer_gl0_inv
	v_mul_lo_u16 v14, v11, 17
	v_add_nc_u32_e32 v51, 0xe00, v26
	v_sub_nc_u16 v43, v0, v6
	v_mul_u32_u24_sdwa v6, v31, v9 dst_sel:DWORD dst_unused:UNUSED_PAD src0_sel:WORD_0 src1_sel:DWORD
	v_mul_lo_u16 v13, v44, 17
	v_mul_u32_u24_sdwa v9, v10, v9 dst_sel:DWORD dst_unused:UNUSED_PAD src0_sel:WORD_0 src1_sel:DWORD
	v_sub_nc_u16 v45, v7, v14
	v_lshlrev_b32_sdwa v7, v17, v43 dst_sel:DWORD dst_unused:UNUSED_PAD src0_sel:DWORD src1_sel:BYTE_0
	v_lshrrev_b32_e32 v46, 20, v6
	v_sub_nc_u16 v48, v32, v13
	v_lshrrev_b32_e32 v47, 20, v9
	v_lshlrev_b32_sdwa v9, v17, v45 dst_sel:DWORD dst_unused:UNUSED_PAD src0_sel:DWORD src1_sel:WORD_0
	global_load_dwordx2 v[6:7], v7, s[8:9]
	v_mul_lo_u16 v15, v46, 17
	v_mov_b32_e32 v53, 0xcc
	v_mov_b32_e32 v34, 2
	global_load_dwordx2 v[13:14], v9, s[8:9]
	v_mul_u32_u24_e32 v46, 0xcc, v46
	v_sub_nc_u16 v49, v31, v15
	v_lshlrev_b32_sdwa v15, v17, v48 dst_sel:DWORD dst_unused:UNUSED_PAD src0_sel:DWORD src1_sel:BYTE_0
	v_mul_u32_u24_sdwa v33, v33, v53 dst_sel:DWORD dst_unused:UNUSED_PAD src0_sel:WORD_0 src1_sel:DWORD
	v_lshlrev_b32_sdwa v43, v34, v43 dst_sel:DWORD dst_unused:UNUSED_PAD src0_sel:DWORD src1_sel:BYTE_0
	v_mul_u32_u24_e32 v11, 0xcc, v11
	v_mul_u32_u24_sdwa v44, v44, v53 dst_sel:DWORD dst_unused:UNUSED_PAD src0_sel:WORD_0 src1_sel:DWORD
	global_load_dwordx2 v[15:16], v15, s[8:9]
	v_mul_lo_u16 v9, v47, 17
	v_lshlrev_b32_sdwa v45, v34, v45 dst_sel:DWORD dst_unused:UNUSED_PAD src0_sel:DWORD src1_sel:WORD_0
	v_add3_u32 v33, 0, v33, v43
	v_lshlrev_b32_sdwa v43, v34, v48 dst_sel:DWORD dst_unused:UNUSED_PAD src0_sel:DWORD src1_sel:BYTE_0
	v_mul_u32_u24_e32 v47, 0xcc, v47
	v_sub_nc_u16 v50, v10, v9
	v_lshlrev_b32_sdwa v9, v17, v49 dst_sel:DWORD dst_unused:UNUSED_PAD src0_sel:DWORD src1_sel:WORD_0
	v_lshlrev_b32_sdwa v49, v34, v49 dst_sel:DWORD dst_unused:UNUSED_PAD src0_sel:DWORD src1_sel:WORD_0
	v_add3_u32 v45, 0, v11, v45
	v_add3_u32 v43, 0, v44, v43
	v_lshlrev_b32_sdwa v10, v17, v50 dst_sel:DWORD dst_unused:UNUSED_PAD src0_sel:DWORD src1_sel:WORD_0
	s_clause 0x1
	global_load_dwordx2 v[17:18], v9, s[8:9]
	global_load_dwordx2 v[19:20], v10, s[8:9]
	ds_read2_b32 v[21:22], v26 offset1:102
	ds_read2_b32 v[35:36], v23 offset0:76 offset1:178
	ds_read2_b32 v[37:38], v30 offset0:100 offset1:202
	;; [unrolled: 1-line block ×6, first 2 shown]
	ds_read_b32 v52, v26 offset:5712
	v_lshlrev_b32_sdwa v50, v34, v50 dst_sel:DWORD dst_unused:UNUSED_PAD src0_sel:DWORD src1_sel:WORD_0
	v_add3_u32 v46, 0, v46, v49
	s_waitcnt vmcnt(0) lgkmcnt(0)
	s_barrier
	buffer_gl0_inv
	v_add3_u32 v47, 0, v47, v50
	v_add_nc_u32_e32 v54, 0x600, v26
	v_lshrrev_b32_e32 v55, 16, v21
	v_lshrrev_b32_e32 v56, 16, v22
	;; [unrolled: 1-line block ×15, first 2 shown]
	v_mul_f16_sdwa v11, v6, v65 dst_sel:DWORD dst_unused:UNUSED_PAD src0_sel:WORD_1 src1_sel:DWORD
	v_mul_f16_sdwa v44, v6, v10 dst_sel:DWORD dst_unused:UNUSED_PAD src0_sel:WORD_1 src1_sel:DWORD
	;; [unrolled: 1-line block ×4, first 2 shown]
	v_mul_f16_sdwa v50, v63, v13 dst_sel:DWORD dst_unused:UNUSED_PAD src0_sel:DWORD src1_sel:WORD_1
	v_mul_f16_sdwa v68, v42, v13 dst_sel:DWORD dst_unused:UNUSED_PAD src0_sel:DWORD src1_sel:WORD_1
	;; [unrolled: 1-line block ×4, first 2 shown]
	v_fma_f16 v10, v6, v10, -v11
	v_fmac_f16_e32 v44, v6, v65
	v_fma_f16 v6, v7, v29, -v48
	v_fmac_f16_e32 v49, v7, v53
	v_mul_f16_sdwa v7, v15, v66 dst_sel:DWORD dst_unused:UNUSED_PAD src0_sel:WORD_1 src1_sel:DWORD
	v_mul_f16_sdwa v11, v15, v37 dst_sel:DWORD dst_unused:UNUSED_PAD src0_sel:WORD_1 src1_sel:DWORD
	;; [unrolled: 1-line block ×4, first 2 shown]
	v_fma_f16 v42, v42, v13, -v50
	v_fmac_f16_e32 v68, v63, v13
	v_fma_f16 v13, v52, v14, -v69
	v_fmac_f16_e32 v70, v64, v14
	;; [unrolled: 2-line block ×4, first 2 shown]
	v_add_f16_e32 v29, v55, v44
	v_add_f16_e32 v37, v44, v49
	v_mul_f16_sdwa v53, v58, v17 dst_sel:DWORD dst_unused:UNUSED_PAD src0_sel:DWORD src1_sel:WORD_1
	v_mul_f16_sdwa v65, v38, v17 dst_sel:DWORD dst_unused:UNUSED_PAD src0_sel:DWORD src1_sel:WORD_1
	;; [unrolled: 1-line block ×8, first 2 shown]
	v_fma_f16 v15, v38, v17, -v53
	v_fmac_f16_e32 v65, v58, v17
	v_fma_f16 v16, v39, v18, -v71
	v_fmac_f16_e32 v72, v59, v18
	v_fma_f16 v17, v41, v19, -v73
	v_fmac_f16_e32 v74, v61, v19
	v_fma_f16 v18, v40, v20, -v75
	v_fmac_f16_e32 v76, v62, v20
	v_add_f16_e32 v19, v21, v10
	v_add_f16_e32 v20, v10, v6
	v_sub_f16_e32 v30, v44, v49
	v_sub_f16_e32 v38, v10, v6
	v_add_f16_e32 v10, v9, v42
	v_add_f16_e32 v39, v42, v13
	;; [unrolled: 1-line block ×3, first 2 shown]
	v_fma_f16 v19, -0.5, v20, v21
	v_add_f16_e32 v20, v29, v49
	v_fmac_f16_e32 v55, -0.5, v37
	v_add_f16_e32 v37, v7, v14
	v_sub_f16_e32 v49, v11, v48
	v_add_f16_e32 v50, v56, v11
	v_add_f16_e32 v11, v11, v48
	;; [unrolled: 1-line block ×7, first 2 shown]
	v_sub_f16_e32 v40, v68, v70
	v_add_f16_e32 v41, v28, v68
	v_sub_f16_e32 v42, v42, v13
	v_add_f16_e32 v21, v22, v7
	;; [unrolled: 2-line block ×3, first 2 shown]
	v_fmac_f16_e32 v9, -0.5, v39
	v_fmamk_f16 v13, v30, 0x3aee, v19
	v_fmamk_f16 v39, v38, 0xbaee, v55
	v_fmac_f16_e32 v22, -0.5, v37
	v_fmac_f16_e32 v56, -0.5, v11
	v_sub_f16_e32 v58, v65, v72
	v_add_f16_e32 v59, v57, v65
	v_add_f16_e32 v62, v36, v17
	;; [unrolled: 1-line block ×3, first 2 shown]
	v_sub_f16_e32 v17, v17, v18
	v_fmac_f16_e32 v19, 0xbaee, v30
	v_fmac_f16_e32 v55, 0x3aee, v38
	v_fmac_f16_e32 v60, -0.5, v66
	v_add_f16_e32 v52, v35, v15
	v_sub_f16_e32 v15, v15, v16
	v_fmac_f16_e32 v28, -0.5, v44
	v_fma_f16 v35, -0.5, v53, v35
	v_fmac_f16_e32 v57, -0.5, v61
	v_sub_f16_e32 v64, v74, v76
	v_fmac_f16_e32 v36, -0.5, v63
	v_add_f16_e32 v29, v41, v70
	v_add_f16_e32 v14, v21, v14
	;; [unrolled: 1-line block ×3, first 2 shown]
	v_fmamk_f16 v11, v40, 0x3aee, v9
	v_fmac_f16_e32 v9, 0xbaee, v40
	v_pack_b32_f16 v6, v6, v20
	v_fmamk_f16 v40, v49, 0x3aee, v22
	v_fmamk_f16 v41, v7, 0xbaee, v56
	v_pack_b32_f16 v13, v13, v39
	v_fmac_f16_e32 v22, 0xbaee, v49
	v_fmac_f16_e32 v56, 0x3aee, v7
	v_fmamk_f16 v44, v17, 0xbaee, v60
	v_fmac_f16_e32 v60, 0x3aee, v17
	v_pack_b32_f16 v17, v19, v55
	v_add_f16_e32 v16, v52, v16
	v_add_f16_e32 v37, v59, v72
	v_fmamk_f16 v30, v42, 0xbaee, v28
	v_fmac_f16_e32 v28, 0x3aee, v42
	v_fmamk_f16 v7, v58, 0x3aee, v35
	v_fmamk_f16 v42, v15, 0xbaee, v57
	v_fmac_f16_e32 v35, 0xbaee, v58
	v_fmac_f16_e32 v57, 0x3aee, v15
	v_add_f16_e32 v18, v62, v18
	v_add_f16_e32 v38, v65, v76
	v_fmamk_f16 v15, v64, 0x3aee, v36
	v_fmac_f16_e32 v36, 0xbaee, v64
	v_pack_b32_f16 v14, v14, v21
	ds_write2_b32 v33, v6, v13 offset1:17
	ds_write_b32 v33, v17 offset:136
	v_pack_b32_f16 v6, v40, v41
	v_pack_b32_f16 v13, v22, v56
	;; [unrolled: 1-line block ×11, first 2 shown]
	ds_write2_b32 v43, v14, v6 offset1:17
	ds_write_b32 v43, v13 offset:136
	ds_write2_b32 v46, v16, v7 offset1:17
	ds_write_b32 v46, v17 offset:136
	;; [unrolled: 2-line block ×4, first 2 shown]
	s_waitcnt lgkmcnt(0)
	s_barrier
	buffer_gl0_inv
	ds_read2_b32 v[14:15], v26 offset1:102
	ds_read2_b32 v[18:19], v23 offset0:127 offset1:229
	ds_read2_b32 v[16:17], v54 offset0:126 offset1:228
	;; [unrolled: 1-line block ×5, first 2 shown]
                                        ; implicit-def: $vgpr33
	s_and_saveexec_b32 s1, s0
	s_cbranch_execz .LBB0_23
; %bb.22:
	v_add_nc_u32_e32 v1, 0x330, v26
	v_add_nc_u32_e32 v5, 0xb28, v26
	;; [unrolled: 1-line block ×3, first 2 shown]
	ds_read2_b32 v[10:11], v1 offset1:255
	ds_read2_b32 v[7:8], v5 offset1:255
	;; [unrolled: 1-line block ×3, first 2 shown]
	s_waitcnt lgkmcnt(2)
	v_lshrrev_b32_e32 v29, 16, v10
	v_lshrrev_b32_e32 v30, 16, v11
	s_waitcnt lgkmcnt(1)
	v_lshrrev_b32_e32 v28, 16, v7
	v_lshrrev_b32_e32 v1, 16, v8
	;; [unrolled: 3-line block ×3, first 2 shown]
	v_mov_b32_e32 v9, v7
.LBB0_23:
	s_or_b32 exec_lo, exec_lo, s1
	v_subrev_nc_u32_e32 v7, 51, v0
	v_mul_lo_u16 v12, 0xa1, v12
	v_mov_b32_e32 v13, 0
	v_mov_b32_e32 v54, 0x4c8
	s_waitcnt lgkmcnt(3)
	v_lshrrev_b32_e32 v51, 16, v16
	v_cndmask_b32_e64 v7, v7, v0, s0
	v_lshrrev_b16 v43, 13, v12
	s_waitcnt lgkmcnt(2)
	v_lshrrev_b32_e32 v52, 16, v20
	s_waitcnt lgkmcnt(1)
	v_lshrrev_b32_e32 v53, 16, v22
	;; [unrolled: 2-line block ×3, first 2 shown]
	v_mul_i32_i24_e32 v12, 5, v7
	v_mul_lo_u16 v37, v43, 51
	v_lshrrev_b32_e32 v49, 16, v25
	v_lshrrev_b32_e32 v50, 16, v18
	v_lshlrev_b32_e32 v7, 2, v7
	v_lshlrev_b64 v[35:36], 2, v[12:13]
	v_mov_b32_e32 v12, 5
	v_sub_nc_u16 v44, v32, v37
	v_mul_u32_u24_sdwa v43, v43, v54 dst_sel:DWORD dst_unused:UNUSED_PAD src0_sel:WORD_0 src1_sel:DWORD
	v_lshrrev_b32_e32 v57, 16, v21
	v_lshrrev_b32_e32 v54, 16, v17
	v_add_co_u32 v39, s1, s8, v35
	v_mul_u32_u24_sdwa v12, v44, v12 dst_sel:DWORD dst_unused:UNUSED_PAD src0_sel:BYTE_0 src1_sel:DWORD
	v_add_co_ci_u32_e64 v40, s1, s9, v36, s1
	v_cmp_lt_u32_e64 s1, 50, v0
	v_lshlrev_b32_sdwa v34, v34, v44 dst_sel:DWORD dst_unused:UNUSED_PAD src0_sel:DWORD src1_sel:BYTE_0
	v_lshlrev_b32_e32 v12, 2, v12
	s_clause 0x3
	global_load_dwordx4 v[35:38], v[39:40], off offset:136
	global_load_dword v45, v[39:40], off offset:152
	global_load_dwordx4 v[39:42], v12, s[8:9] offset:136
	global_load_dword v12, v12, s[8:9] offset:152
	v_cndmask_b32_e64 v56, 0, 0x4c8, s1
	v_lshrrev_b32_e32 v44, 16, v19
	v_lshrrev_b32_e32 v48, 16, v23
	v_add3_u32 v34, 0, v43, v34
	v_lshrrev_b32_e32 v46, 16, v14
	v_add3_u32 v7, 0, v56, v7
	v_lshrrev_b32_e32 v47, 16, v15
	s_waitcnt vmcnt(0)
	s_barrier
	buffer_gl0_inv
	v_mul_f16_sdwa v58, v36, v51 dst_sel:DWORD dst_unused:UNUSED_PAD src0_sel:WORD_1 src1_sel:DWORD
	v_mul_f16_sdwa v59, v36, v16 dst_sel:DWORD dst_unused:UNUSED_PAD src0_sel:WORD_1 src1_sel:DWORD
	;; [unrolled: 1-line block ×13, first 2 shown]
	v_mul_f16_sdwa v73, v23, v42 dst_sel:DWORD dst_unused:UNUSED_PAD src0_sel:DWORD src1_sel:WORD_1
	v_mul_f16_sdwa v74, v49, v12 dst_sel:DWORD dst_unused:UNUSED_PAD src0_sel:DWORD src1_sel:WORD_1
	;; [unrolled: 1-line block ×3, first 2 shown]
	v_mul_f16_sdwa v66, v39, v44 dst_sel:DWORD dst_unused:UNUSED_PAD src0_sel:WORD_1 src1_sel:DWORD
	v_mul_f16_sdwa v67, v39, v19 dst_sel:DWORD dst_unused:UNUSED_PAD src0_sel:WORD_1 src1_sel:DWORD
	;; [unrolled: 1-line block ×3, first 2 shown]
	v_fma_f16 v16, v36, v16, -v58
	v_fmac_f16_e32 v59, v36, v51
	v_fma_f16 v20, v37, v20, -v60
	v_fmac_f16_e32 v61, v37, v52
	;; [unrolled: 2-line block ×4, first 2 shown]
	v_mul_f16_sdwa v72, v48, v42 dst_sel:DWORD dst_unused:UNUSED_PAD src0_sel:DWORD src1_sel:WORD_1
	v_fma_f16 v18, v35, v18, -v43
	v_fmac_f16_e32 v56, v35, v50
	v_fmac_f16_e32 v69, v40, v54
	v_fma_f16 v21, v41, v21, -v70
	v_fmac_f16_e32 v71, v41, v57
	v_fmac_f16_e32 v73, v48, v42
	v_fma_f16 v25, v25, v12, -v74
	v_fmac_f16_e32 v75, v49, v12
	v_fma_f16 v19, v39, v19, -v66
	;; [unrolled: 2-line block ×3, first 2 shown]
	v_add_f16_e32 v35, v16, v22
	v_add_f16_e32 v38, v59, v63
	;; [unrolled: 1-line block ×4, first 2 shown]
	v_fma_f16 v23, v23, v42, -v72
	v_add_f16_e32 v12, v14, v16
	v_add_f16_e32 v37, v46, v59
	;; [unrolled: 1-line block ×7, first 2 shown]
	v_sub_f16_e32 v36, v59, v63
	v_sub_f16_e32 v16, v16, v22
	;; [unrolled: 1-line block ×4, first 2 shown]
	v_add_f16_e32 v44, v15, v17
	v_add_f16_e32 v49, v47, v69
	v_add_f16_e32 v51, v19, v21
	v_add_f16_e32 v54, v67, v71
	v_fma_f16 v14, -0.5, v35, v14
	v_fmac_f16_e32 v46, -0.5, v38
	v_fmac_f16_e32 v18, -0.5, v40
	;; [unrolled: 1-line block ×3, first 2 shown]
	v_add_f16_e32 v45, v17, v23
	v_sub_f16_e32 v17, v17, v23
	v_sub_f16_e32 v53, v71, v75
	;; [unrolled: 1-line block ×3, first 2 shown]
	v_add_f16_e32 v12, v12, v22
	v_add_f16_e32 v22, v37, v63
	;; [unrolled: 1-line block ×4, first 2 shown]
	v_fmac_f16_e32 v47, -0.5, v50
	v_fmac_f16_e32 v19, -0.5, v52
	v_fmac_f16_e32 v67, -0.5, v55
	v_add_f16_e32 v23, v44, v23
	v_add_f16_e32 v37, v49, v73
	;; [unrolled: 1-line block ×4, first 2 shown]
	v_fmamk_f16 v39, v36, 0x3aee, v14
	v_fmac_f16_e32 v14, 0xbaee, v36
	v_fmamk_f16 v36, v16, 0xbaee, v46
	v_fmac_f16_e32 v46, 0x3aee, v16
	v_fmamk_f16 v16, v41, 0x3aee, v18
	v_fmamk_f16 v40, v20, 0xbaee, v56
	v_fmac_f16_e32 v18, 0xbaee, v41
	v_fmac_f16_e32 v56, 0x3aee, v20
	v_sub_f16_e32 v48, v69, v73
	v_fmac_f16_e32 v15, -0.5, v45
	v_add_f16_e32 v20, v12, v24
	v_add_f16_e32 v41, v22, v35
	v_sub_f16_e32 v12, v12, v24
	v_sub_f16_e32 v22, v22, v35
	v_fmamk_f16 v35, v17, 0xbaee, v47
	v_fmac_f16_e32 v47, 0x3aee, v17
	v_fmamk_f16 v17, v53, 0x3aee, v19
	v_fmamk_f16 v42, v21, 0xbaee, v67
	v_fmac_f16_e32 v19, 0xbaee, v53
	v_fmac_f16_e32 v67, 0x3aee, v21
	v_add_f16_e32 v21, v23, v25
	v_add_f16_e32 v43, v37, v38
	v_sub_f16_e32 v23, v23, v25
	v_sub_f16_e32 v25, v37, v38
	v_mul_f16_e32 v37, 0x3aee, v40
	v_mul_f16_e32 v44, 0xbaee, v16
	v_mul_f16_e32 v38, -0.5, v18
	v_mul_f16_e32 v45, -0.5, v56
	v_fmamk_f16 v24, v48, 0x3aee, v15
	v_fmac_f16_e32 v15, 0xbaee, v48
	v_pack_b32_f16 v12, v12, v22
	v_mul_f16_e32 v22, 0x3aee, v42
	v_mul_f16_e32 v48, 0xbaee, v17
	v_pack_b32_f16 v20, v20, v41
	v_mul_f16_e32 v41, -0.5, v19
	v_mul_f16_e32 v49, -0.5, v67
	v_fmac_f16_e32 v37, 0.5, v16
	v_fmac_f16_e32 v44, 0.5, v40
	v_fmac_f16_e32 v38, 0x3aee, v56
	v_fmac_f16_e32 v45, 0xbaee, v18
	v_fmac_f16_e32 v22, 0.5, v17
	v_fmac_f16_e32 v48, 0.5, v42
	v_fmac_f16_e32 v41, 0x3aee, v67
	v_fmac_f16_e32 v49, 0xbaee, v19
	v_add_f16_e32 v16, v39, v37
	v_add_f16_e32 v18, v36, v44
	;; [unrolled: 1-line block ×4, first 2 shown]
	v_pack_b32_f16 v23, v23, v25
	v_sub_f16_e32 v25, v39, v37
	v_sub_f16_e32 v14, v14, v38
	;; [unrolled: 1-line block ×4, first 2 shown]
	v_add_f16_e32 v38, v24, v22
	v_add_f16_e32 v40, v35, v48
	;; [unrolled: 1-line block ×4, first 2 shown]
	v_sub_f16_e32 v22, v24, v22
	v_sub_f16_e32 v15, v15, v41
	;; [unrolled: 1-line block ×4, first 2 shown]
	v_pack_b32_f16 v16, v16, v18
	v_pack_b32_f16 v17, v17, v19
	;; [unrolled: 1-line block ×9, first 2 shown]
	ds_write2_b32 v7, v20, v16 offset1:51
	ds_write2_b32 v7, v17, v12 offset0:102 offset1:153
	ds_write2_b32 v7, v18, v14 offset0:204 offset1:255
	ds_write2_b32 v34, v21, v19 offset1:51
	ds_write2_b32 v34, v25, v23 offset0:102 offset1:153
	ds_write2_b32 v34, v22, v15 offset0:204 offset1:255
	s_and_saveexec_b32 s1, s0
	s_cbranch_execz .LBB0_25
; %bb.24:
	v_mov_b32_e32 v7, 0xa0a1
	v_mul_u32_u24_sdwa v7, v31, v7 dst_sel:DWORD dst_unused:UNUSED_PAD src0_sel:WORD_0 src1_sel:DWORD
	v_lshrrev_b32_e32 v7, 21, v7
	v_mul_lo_u16 v7, v7, 51
	v_sub_nc_u16 v7, v31, v7
	v_and_b32_e32 v7, 0xffff, v7
	v_mul_u32_u24_e32 v12, 5, v7
	v_lshl_add_u32 v7, v7, 2, 0
	v_lshlrev_b32_e32 v12, 2, v12
	v_add_nc_u32_e32 v18, 0x1000, v7
	v_add_nc_u32_e32 v7, 0x1400, v7
	s_clause 0x1
	global_load_dwordx4 v[14:17], v12, s[8:9] offset:136
	global_load_dword v12, v12, s[8:9] offset:152
	s_waitcnt vmcnt(1)
	v_mul_f16_sdwa v24, v1, v16 dst_sel:DWORD dst_unused:UNUSED_PAD src0_sel:DWORD src1_sel:WORD_1
	s_waitcnt vmcnt(0)
	v_mul_f16_sdwa v25, v33, v12 dst_sel:DWORD dst_unused:UNUSED_PAD src0_sel:DWORD src1_sel:WORD_1
	v_mul_f16_sdwa v34, v8, v16 dst_sel:DWORD dst_unused:UNUSED_PAD src0_sel:DWORD src1_sel:WORD_1
	;; [unrolled: 1-line block ×9, first 2 shown]
	v_fma_f16 v8, v8, v16, -v24
	v_fma_f16 v6, v6, v12, -v25
	v_fmac_f16_e32 v34, v1, v16
	v_fmac_f16_e32 v35, v33, v12
	v_fma_f16 v9, v9, v15, -v19
	v_fma_f16 v5, v5, v17, -v20
	v_fmac_f16_e32 v21, v28, v15
	v_fmac_f16_e32 v22, v27, v17
	v_fma_f16 v11, v11, v14, -v23
	v_fmac_f16_e32 v36, v30, v14
	v_add_f16_e32 v14, v8, v6
	v_add_f16_e32 v17, v34, v35
	v_sub_f16_e32 v1, v9, v5
	v_sub_f16_e32 v15, v34, v35
	;; [unrolled: 1-line block ×3, first 2 shown]
	v_add_f16_e32 v19, v29, v21
	v_add_f16_e32 v20, v36, v34
	;; [unrolled: 1-line block ×5, first 2 shown]
	v_fma_f16 v11, -0.5, v14, v11
	v_fma_f16 v14, -0.5, v17, v36
	v_add_f16_e32 v12, v21, v22
	v_sub_f16_e32 v21, v21, v22
	v_add_f16_e32 v17, v19, v22
	v_add_f16_e32 v19, v20, v35
	v_fma_f16 v10, -0.5, v23, v10
	v_add_f16_e32 v5, v9, v5
	v_fmamk_f16 v9, v15, 0xbaee, v11
	v_fmamk_f16 v20, v16, 0x3aee, v14
	v_fmac_f16_e32 v14, 0xbaee, v16
	v_fmac_f16_e32 v11, 0x3aee, v15
	v_fma_f16 v12, -0.5, v12, v29
	v_add_f16_e32 v6, v8, v6
	v_fmamk_f16 v15, v21, 0xbaee, v10
	v_fmac_f16_e32 v10, 0x3aee, v21
	v_mul_f16_e32 v21, 0xbaee, v11
	v_mul_f16_e32 v22, 0x3aee, v14
	v_fmamk_f16 v8, v1, 0x3aee, v12
	v_fmac_f16_e32 v12, 0xbaee, v1
	v_sub_f16_e32 v1, v17, v19
	v_sub_f16_e32 v16, v5, v6
	v_add_f16_e32 v17, v17, v19
	v_mul_f16_e32 v19, -0.5, v20
	v_add_f16_e32 v5, v5, v6
	v_mul_f16_e32 v6, -0.5, v9
	v_fmac_f16_e32 v21, 0.5, v14
	v_fmac_f16_e32 v22, 0.5, v11
	v_fmac_f16_e32 v19, 0xbaee, v9
	v_pack_b32_f16 v5, v5, v17
	v_fmac_f16_e32 v6, 0x3aee, v20
	v_sub_f16_e32 v11, v12, v21
	v_add_f16_e32 v12, v12, v21
	v_add_f16_e32 v14, v10, v22
	v_sub_f16_e32 v9, v8, v19
	v_add_f16_e32 v8, v8, v19
	v_add_f16_e32 v17, v15, v6
	v_sub_f16_e32 v10, v10, v22
	v_sub_f16_e32 v6, v15, v6
	v_pack_b32_f16 v12, v14, v12
	v_pack_b32_f16 v1, v16, v1
	;; [unrolled: 1-line block ×5, first 2 shown]
	ds_write2_b32 v18, v5, v12 offset0:200 offset1:251
	ds_write2_b32 v7, v8, v1 offset0:46 offset1:97
	ds_write2_b32 v7, v10, v6 offset0:148 offset1:199
.LBB0_25:
	s_or_b32 exec_lo, exec_lo, s1
	v_mov_b32_e32 v5, v13
	v_lshlrev_b32_e32 v12, 2, v32
	s_waitcnt lgkmcnt(0)
	s_barrier
	buffer_gl0_inv
	v_lshlrev_b64 v[4:5], 2, v[4:5]
	v_lshlrev_b64 v[6:7], 2, v[12:13]
	v_lshlrev_b32_e32 v12, 2, v31
	v_add_nc_u32_e32 v11, 0x800, v26
	v_add_nc_u32_e32 v1, 0xe00, v26
	;; [unrolled: 1-line block ×3, first 2 shown]
	v_add_co_u32 v4, s0, s8, v4
	v_add_co_ci_u32_e64 v5, s0, s9, v5, s0
	v_add_nc_u32_e32 v10, 0x400, v26
	v_add_nc_u32_e32 v9, 0xc00, v26
	global_load_dwordx4 v[14:17], v[4:5], off offset:1156
	v_add_co_u32 v4, s0, s8, v6
	v_add_co_ci_u32_e64 v5, s0, s9, v7, s0
	global_load_dwordx4 v[18:21], v[4:5], off offset:1156
	v_lshlrev_b64 v[4:5], 2, v[12:13]
	v_add_nc_u32_e32 v12, 0x1200, v26
	ds_read_b32 v13, v26 offset:5712
	v_add_co_u32 v4, s0, s8, v4
	v_add_co_ci_u32_e64 v5, s0, s9, v5, s0
	global_load_dwordx4 v[22:25], v[4:5], off offset:1156
	ds_read2_b32 v[4:5], v26 offset1:102
	ds_read2_b32 v[27:28], v11 offset0:100 offset1:202
	ds_read2_b32 v[29:30], v1 offset0:124 offset1:226
	;; [unrolled: 1-line block ×6, first 2 shown]
	ds_read_u16 v37, v26 offset:1634
	s_waitcnt vmcnt(0) lgkmcnt(0)
	s_barrier
	buffer_gl0_inv
	v_lshrrev_b32_e32 v40, 16, v13
	v_lshrrev_b32_e32 v41, 16, v28
	;; [unrolled: 1-line block ×14, first 2 shown]
	v_mul_f16_sdwa v52, v14, v47 dst_sel:DWORD dst_unused:UNUSED_PAD src0_sel:WORD_1 src1_sel:DWORD
	v_mul_f16_sdwa v53, v14, v7 dst_sel:DWORD dst_unused:UNUSED_PAD src0_sel:WORD_1 src1_sel:DWORD
	;; [unrolled: 1-line block ×8, first 2 shown]
	v_mul_f16_sdwa v60, v37, v18 dst_sel:DWORD dst_unused:UNUSED_PAD src0_sel:DWORD src1_sel:WORD_1
	v_mul_f16_sdwa v61, v18, v33 dst_sel:DWORD dst_unused:UNUSED_PAD src0_sel:WORD_1 src1_sel:DWORD
	v_mul_f16_sdwa v62, v41, v19 dst_sel:DWORD dst_unused:UNUSED_PAD src0_sel:DWORD src1_sel:WORD_1
	v_mul_f16_sdwa v63, v28, v19 dst_sel:DWORD dst_unused:UNUSED_PAD src0_sel:DWORD src1_sel:WORD_1
	;; [unrolled: 1-line block ×6, first 2 shown]
	v_fma_f16 v7, v14, v7, -v52
	v_fmac_f16_e32 v53, v14, v47
	v_fma_f16 v14, v15, v27, -v54
	v_fmac_f16_e32 v55, v15, v49
	;; [unrolled: 2-line block ×8, first 2 shown]
	v_mul_f16_sdwa v21, v45, v22 dst_sel:DWORD dst_unused:UNUSED_PAD src0_sel:DWORD src1_sel:WORD_1
	v_mul_f16_sdwa v27, v34, v22 dst_sel:DWORD dst_unused:UNUSED_PAD src0_sel:DWORD src1_sel:WORD_1
	;; [unrolled: 1-line block ×8, first 2 shown]
	v_fma_f16 v21, v34, v22, -v21
	v_fmac_f16_e32 v27, v45, v22
	v_fma_f16 v22, v35, v23, -v28
	v_fmac_f16_e32 v29, v46, v23
	;; [unrolled: 2-line block ×4, first 2 shown]
	v_add_f16_e32 v24, v4, v7
	v_add_f16_e32 v25, v14, v15
	v_sub_f16_e32 v31, v7, v14
	v_sub_f16_e32 v33, v16, v15
	v_add_f16_e32 v34, v7, v16
	v_sub_f16_e32 v35, v14, v7
	v_sub_f16_e32 v37, v15, v16
	v_add_f16_e32 v40, v38, v53
	v_add_f16_e32 v41, v55, v57
	v_sub_f16_e32 v43, v53, v55
	v_sub_f16_e32 v45, v59, v57
	v_add_f16_e32 v46, v53, v59
	v_add_f16_e32 v49, v5, v17
	;; [unrolled: 1-line block ×7, first 2 shown]
	v_sub_f16_e32 v58, v18, v17
	v_sub_f16_e32 v60, v19, v20
	;; [unrolled: 1-line block ×13, first 2 shown]
	v_add_f16_e32 v14, v24, v14
	v_fma_f16 v24, -0.5, v25, v4
	v_add_f16_e32 v25, v31, v33
	v_fma_f16 v4, -0.5, v34, v4
	v_add_f16_e32 v31, v35, v37
	v_add_f16_e32 v33, v40, v55
	v_fma_f16 v34, -0.5, v41, v38
	v_add_f16_e32 v35, v43, v45
	v_fmac_f16_e32 v38, -0.5, v46
	v_add_f16_e32 v18, v49, v18
	v_fma_f16 v40, -0.5, v50, v5
	v_fmac_f16_e32 v5, -0.5, v56
	v_add_f16_e32 v45, v62, v63
	v_fma_f16 v46, -0.5, v64, v39
	v_fmac_f16_e32 v39, -0.5, v70
	v_add_f16_e32 v49, v6, v21
	v_add_f16_e32 v50, v22, v23
	v_sub_f16_e32 v55, v21, v22
	v_sub_f16_e32 v56, v13, v23
	v_add_f16_e32 v63, v29, v32
	v_sub_f16_e32 v7, v7, v16
	v_sub_f16_e32 v48, v57, v59
	;; [unrolled: 1-line block ×4, first 2 shown]
	v_add_f16_e32 v43, v58, v60
	v_add_f16_e32 v58, v21, v13
	;; [unrolled: 1-line block ×4, first 2 shown]
	v_sub_f16_e32 v71, v65, v67
	v_add_f16_e32 v41, v53, v54
	v_sub_f16_e32 v53, v27, v36
	v_sub_f16_e32 v60, v22, v21
	;; [unrolled: 1-line block ×4, first 2 shown]
	v_add_f16_e32 v14, v14, v15
	v_fmamk_f16 v72, v30, 0xbb9c, v4
	v_fmac_f16_e32 v4, 0x3b9c, v30
	v_add_f16_e32 v33, v33, v57
	v_fmamk_f16 v73, v42, 0x3b9c, v38
	v_fmac_f16_e32 v38, 0xbb9c, v42
	v_add_f16_e32 v18, v18, v19
	v_fmamk_f16 v74, v52, 0xbb9c, v5
	v_add_f16_e32 v45, v45, v65
	v_fmamk_f16 v75, v66, 0x3b9c, v39
	v_add_f16_e32 v22, v49, v22
	v_fma_f16 v49, -0.5, v50, v6
	v_add_f16_e32 v50, v55, v56
	v_fma_f16 v56, -0.5, v63, v44
	v_add_f16_e32 v37, v47, v48
	v_add_f16_e32 v47, v68, v69
	v_sub_f16_e32 v54, v29, v32
	v_sub_f16_e32 v68, v27, v29
	;; [unrolled: 1-line block ×3, first 2 shown]
	v_fmamk_f16 v15, v28, 0x3b9c, v24
	v_fmac_f16_e32 v24, 0xbb9c, v28
	v_fmamk_f16 v57, v7, 0xbb9c, v34
	v_fmac_f16_e32 v34, 0x3b9c, v7
	;; [unrolled: 2-line block ×4, first 2 shown]
	v_fmac_f16_e32 v39, 0xbb9c, v66
	v_fmac_f16_e32 v6, -0.5, v58
	v_add_f16_e32 v29, v62, v29
	v_fmac_f16_e32 v44, -0.5, v70
	v_add_f16_e32 v48, v61, v71
	v_sub_f16_e32 v69, v36, v32
	v_add_f16_e32 v14, v14, v16
	v_fmac_f16_e32 v72, 0x38b4, v28
	v_fmac_f16_e32 v4, 0xb8b4, v28
	v_add_f16_e32 v16, v33, v59
	v_fmac_f16_e32 v73, 0xb8b4, v7
	v_fmac_f16_e32 v38, 0x38b4, v7
	v_add_f16_e32 v7, v18, v20
	v_fmac_f16_e32 v74, 0x38b4, v51
	v_add_f16_e32 v18, v45, v67
	v_fmac_f16_e32 v75, 0xb8b4, v17
	v_fmamk_f16 v20, v53, 0x3b9c, v49
	v_fmamk_f16 v28, v21, 0xbb9c, v56
	v_sub_f16_e32 v61, v23, v13
	v_sub_f16_e32 v71, v32, v36
	v_fmac_f16_e32 v24, 0xb8b4, v30
	v_fmac_f16_e32 v34, 0x38b4, v42
	v_fmac_f16_e32 v40, 0xb8b4, v52
	v_fmac_f16_e32 v46, 0x38b4, v66
	v_fmac_f16_e32 v39, 0x38b4, v17
	v_add_f16_e32 v17, v22, v23
	v_fmamk_f16 v22, v54, 0xbb9c, v6
	v_add_f16_e32 v23, v29, v32
	v_fmamk_f16 v29, v64, 0x3b9c, v44
	v_fmac_f16_e32 v5, 0x3b9c, v52
	v_fmac_f16_e32 v6, 0x3b9c, v54
	;; [unrolled: 1-line block ×7, first 2 shown]
	v_add_f16_e32 v58, v68, v69
	v_fmac_f16_e32 v19, 0x38b4, v52
	v_fmac_f16_e32 v65, 0xb8b4, v66
	;; [unrolled: 1-line block ×8, first 2 shown]
	v_pack_b32_f16 v14, v14, v16
	v_pack_b32_f16 v7, v7, v18
	v_add_f16_e32 v55, v60, v61
	v_add_f16_e32 v27, v27, v71
	v_fmac_f16_e32 v24, 0x34f2, v25
	v_fmac_f16_e32 v34, 0x34f2, v35
	;; [unrolled: 1-line block ×13, first 2 shown]
	v_add_f16_e32 v13, v17, v13
	v_add_f16_e32 v17, v23, v36
	v_fmac_f16_e32 v19, 0x34f2, v41
	v_fmac_f16_e32 v65, 0x34f2, v47
	;; [unrolled: 1-line block ×4, first 2 shown]
	v_pack_b32_f16 v16, v72, v73
	ds_write2_b32 v26, v14, v7 offset1:102
	v_pack_b32_f16 v7, v74, v75
	v_fmac_f16_e32 v4, 0x34f2, v31
	v_fmac_f16_e32 v38, 0x34f2, v37
	;; [unrolled: 1-line block ×4, first 2 shown]
	v_pack_b32_f16 v18, v24, v34
	v_pack_b32_f16 v14, v40, v46
	v_fmac_f16_e32 v5, 0x34f2, v43
	v_fmac_f16_e32 v39, 0x34f2, v48
	;; [unrolled: 1-line block ×6, first 2 shown]
	v_pack_b32_f16 v15, v15, v57
	v_pack_b32_f16 v13, v13, v17
	;; [unrolled: 1-line block ×3, first 2 shown]
	ds_write2_b32 v11, v16, v7 offset0:100 offset1:202
	ds_write2_b32 v12, v18, v14 offset0:72 offset1:174
	v_pack_b32_f16 v7, v20, v28
	v_pack_b32_f16 v4, v4, v38
	;; [unrolled: 1-line block ×6, first 2 shown]
	ds_write2_b32 v8, v13, v15 offset0:76 offset1:178
	ds_write2_b32 v10, v19, v7 offset0:152 offset1:254
	;; [unrolled: 1-line block ×4, first 2 shown]
	ds_write_b32 v26, v12 offset:5712
	s_waitcnt lgkmcnt(0)
	s_barrier
	buffer_gl0_inv
	s_and_saveexec_b32 s0, vcc_lo
	s_cbranch_execz .LBB0_27
; %bb.26:
	v_lshl_add_u32 v18, v0, 2, 0
	v_mov_b32_e32 v1, 0
	v_add_nc_u32_e32 v4, 0x66, v0
	v_add_co_u32 v19, vcc_lo, s2, v2
	ds_read2_b32 v[6:7], v18 offset1:102
	v_mov_b32_e32 v5, v1
	v_lshlrev_b64 v[8:9], 2, v[0:1]
	v_add_co_ci_u32_e32 v20, vcc_lo, s3, v3, vcc_lo
	v_add_nc_u32_e32 v10, 0x132, v0
	v_lshlrev_b64 v[3:4], 2, v[4:5]
	v_mov_b32_e32 v11, v1
	v_add_co_u32 v8, vcc_lo, v19, v8
	v_add_co_ci_u32_e32 v9, vcc_lo, v20, v9, vcc_lo
	v_add_co_u32 v12, vcc_lo, v19, v3
	v_add_co_ci_u32_e32 v13, vcc_lo, v20, v4, vcc_lo
	v_add_nc_u32_e32 v4, 0x200, v18
	v_add_nc_u32_e32 v2, 0xcc, v0
	v_mov_b32_e32 v3, v1
	v_add_nc_u32_e32 v16, 0x800, v18
	s_waitcnt lgkmcnt(0)
	global_store_dword v[8:9], v6, off
	global_store_dword v[12:13], v7, off
	v_add_nc_u32_e32 v12, 0x400, v18
	ds_read2_b32 v[4:5], v4 offset0:76 offset1:178
	v_lshlrev_b64 v[6:7], 2, v[10:11]
	v_lshlrev_b64 v[2:3], 2, v[2:3]
	v_add_nc_u32_e32 v8, 0x198, v0
	ds_read2_b32 v[10:11], v12 offset0:152 offset1:254
	v_mov_b32_e32 v9, v1
	v_add_nc_u32_e32 v12, 0x1fe, v0
	v_mov_b32_e32 v13, v1
	v_add_co_u32 v2, vcc_lo, v19, v2
	v_lshlrev_b64 v[8:9], 2, v[8:9]
	v_add_co_ci_u32_e32 v3, vcc_lo, v20, v3, vcc_lo
	v_add_co_u32 v6, vcc_lo, v19, v6
	ds_read2_b32 v[16:17], v16 offset0:100 offset1:202
	v_add_co_ci_u32_e32 v7, vcc_lo, v20, v7, vcc_lo
	v_add_co_u32 v8, vcc_lo, v19, v8
	v_add_nc_u32_e32 v14, 0x264, v0
	v_mov_b32_e32 v15, v1
	v_add_co_ci_u32_e32 v9, vcc_lo, v20, v9, vcc_lo
	v_lshlrev_b64 v[12:13], 2, v[12:13]
	s_waitcnt lgkmcnt(2)
	global_store_dword v[2:3], v4, off
	global_store_dword v[6:7], v5, off
	s_waitcnt lgkmcnt(1)
	global_store_dword v[8:9], v10, off
	v_lshlrev_b64 v[2:3], 2, v[14:15]
	v_add_nc_u32_e32 v10, 0xc00, v18
	v_add_nc_u32_e32 v6, 0x2ca, v0
	v_mov_b32_e32 v7, v1
	v_add_co_u32 v4, vcc_lo, v19, v12
	v_add_co_ci_u32_e32 v5, vcc_lo, v20, v13, vcc_lo
	v_add_co_u32 v2, vcc_lo, v19, v2
	v_add_co_ci_u32_e32 v3, vcc_lo, v20, v3, vcc_lo
	v_add_nc_u32_e32 v8, 0x330, v0
	v_mov_b32_e32 v9, v1
	global_store_dword v[4:5], v11, off
	s_waitcnt lgkmcnt(0)
	global_store_dword v[2:3], v16, off
	ds_read2_b32 v[4:5], v10 offset0:48 offset1:150
	v_lshlrev_b64 v[2:3], 2, v[6:7]
	v_add_nc_u32_e32 v10, 0x3fc, v0
	v_lshlrev_b64 v[6:7], 2, v[8:9]
	v_add_nc_u32_e32 v8, 0x396, v0
	v_mov_b32_e32 v11, v1
	v_add_nc_u32_e32 v12, 0xe00, v18
	v_add_co_u32 v2, vcc_lo, v19, v2
	v_lshlrev_b64 v[8:9], 2, v[8:9]
	v_add_co_ci_u32_e32 v3, vcc_lo, v20, v3, vcc_lo
	v_add_co_u32 v6, vcc_lo, v19, v6
	v_add_co_ci_u32_e32 v7, vcc_lo, v20, v7, vcc_lo
	v_add_co_u32 v8, vcc_lo, v19, v8
	v_add_co_ci_u32_e32 v9, vcc_lo, v20, v9, vcc_lo
	global_store_dword v[2:3], v17, off
	s_waitcnt lgkmcnt(0)
	global_store_dword v[6:7], v4, off
	global_store_dword v[8:9], v5, off
	v_lshlrev_b64 v[4:5], 2, v[10:11]
	v_add_nc_u32_e32 v6, 0x462, v0
	v_mov_b32_e32 v7, v1
	v_add_nc_u32_e32 v10, 0x1200, v18
	ds_read2_b32 v[2:3], v12 offset0:124 offset1:226
	v_add_nc_u32_e32 v8, 0x4c8, v0
	v_mov_b32_e32 v9, v1
	v_lshlrev_b64 v[6:7], 2, v[6:7]
	ds_read2_b32 v[10:11], v10 offset0:72 offset1:174
	v_add_nc_u32_e32 v12, 0x52e, v0
	v_mov_b32_e32 v13, v1
	ds_read_b32 v14, v18 offset:5712
	v_add_co_u32 v4, vcc_lo, v19, v4
	v_lshlrev_b64 v[8:9], 2, v[8:9]
	v_add_nc_u32_e32 v0, 0x594, v0
	v_add_co_ci_u32_e32 v5, vcc_lo, v20, v5, vcc_lo
	v_add_co_u32 v6, vcc_lo, v19, v6
	v_lshlrev_b64 v[12:13], 2, v[12:13]
	v_add_co_ci_u32_e32 v7, vcc_lo, v20, v7, vcc_lo
	v_add_co_u32 v8, vcc_lo, v19, v8
	v_lshlrev_b64 v[0:1], 2, v[0:1]
	v_add_co_ci_u32_e32 v9, vcc_lo, v20, v9, vcc_lo
	v_add_co_u32 v12, vcc_lo, v19, v12
	v_add_co_ci_u32_e32 v13, vcc_lo, v20, v13, vcc_lo
	v_add_co_u32 v0, vcc_lo, v19, v0
	v_add_co_ci_u32_e32 v1, vcc_lo, v20, v1, vcc_lo
	s_waitcnt lgkmcnt(2)
	global_store_dword v[4:5], v2, off
	global_store_dword v[6:7], v3, off
	s_waitcnt lgkmcnt(1)
	global_store_dword v[8:9], v10, off
	global_store_dword v[12:13], v11, off
	s_waitcnt lgkmcnt(0)
	global_store_dword v[0:1], v14, off
.LBB0_27:
	s_endpgm
	.section	.rodata,"a",@progbits
	.p2align	6, 0x0
	.amdhsa_kernel fft_rtc_fwd_len1530_factors_17_3_6_5_wgs_102_tpt_102_halfLds_half_ip_CI_unitstride_sbrr_C2R_dirReg
		.amdhsa_group_segment_fixed_size 0
		.amdhsa_private_segment_fixed_size 0
		.amdhsa_kernarg_size 88
		.amdhsa_user_sgpr_count 6
		.amdhsa_user_sgpr_private_segment_buffer 1
		.amdhsa_user_sgpr_dispatch_ptr 0
		.amdhsa_user_sgpr_queue_ptr 0
		.amdhsa_user_sgpr_kernarg_segment_ptr 1
		.amdhsa_user_sgpr_dispatch_id 0
		.amdhsa_user_sgpr_flat_scratch_init 0
		.amdhsa_user_sgpr_private_segment_size 0
		.amdhsa_wavefront_size32 1
		.amdhsa_uses_dynamic_stack 0
		.amdhsa_system_sgpr_private_segment_wavefront_offset 0
		.amdhsa_system_sgpr_workgroup_id_x 1
		.amdhsa_system_sgpr_workgroup_id_y 0
		.amdhsa_system_sgpr_workgroup_id_z 0
		.amdhsa_system_sgpr_workgroup_info 0
		.amdhsa_system_vgpr_workitem_id 0
		.amdhsa_next_free_vgpr 177
		.amdhsa_next_free_sgpr 21
		.amdhsa_reserve_vcc 1
		.amdhsa_reserve_flat_scratch 0
		.amdhsa_float_round_mode_32 0
		.amdhsa_float_round_mode_16_64 0
		.amdhsa_float_denorm_mode_32 3
		.amdhsa_float_denorm_mode_16_64 3
		.amdhsa_dx10_clamp 1
		.amdhsa_ieee_mode 1
		.amdhsa_fp16_overflow 0
		.amdhsa_workgroup_processor_mode 1
		.amdhsa_memory_ordered 1
		.amdhsa_forward_progress 0
		.amdhsa_shared_vgpr_count 0
		.amdhsa_exception_fp_ieee_invalid_op 0
		.amdhsa_exception_fp_denorm_src 0
		.amdhsa_exception_fp_ieee_div_zero 0
		.amdhsa_exception_fp_ieee_overflow 0
		.amdhsa_exception_fp_ieee_underflow 0
		.amdhsa_exception_fp_ieee_inexact 0
		.amdhsa_exception_int_div_zero 0
	.end_amdhsa_kernel
	.text
.Lfunc_end0:
	.size	fft_rtc_fwd_len1530_factors_17_3_6_5_wgs_102_tpt_102_halfLds_half_ip_CI_unitstride_sbrr_C2R_dirReg, .Lfunc_end0-fft_rtc_fwd_len1530_factors_17_3_6_5_wgs_102_tpt_102_halfLds_half_ip_CI_unitstride_sbrr_C2R_dirReg
                                        ; -- End function
	.section	.AMDGPU.csdata,"",@progbits
; Kernel info:
; codeLenInByte = 14304
; NumSgprs: 23
; NumVgprs: 177
; ScratchSize: 0
; MemoryBound: 0
; FloatMode: 240
; IeeeMode: 1
; LDSByteSize: 0 bytes/workgroup (compile time only)
; SGPRBlocks: 2
; VGPRBlocks: 22
; NumSGPRsForWavesPerEU: 23
; NumVGPRsForWavesPerEU: 177
; Occupancy: 5
; WaveLimiterHint : 1
; COMPUTE_PGM_RSRC2:SCRATCH_EN: 0
; COMPUTE_PGM_RSRC2:USER_SGPR: 6
; COMPUTE_PGM_RSRC2:TRAP_HANDLER: 0
; COMPUTE_PGM_RSRC2:TGID_X_EN: 1
; COMPUTE_PGM_RSRC2:TGID_Y_EN: 0
; COMPUTE_PGM_RSRC2:TGID_Z_EN: 0
; COMPUTE_PGM_RSRC2:TIDIG_COMP_CNT: 0
	.text
	.p2alignl 6, 3214868480
	.fill 48, 4, 3214868480
	.type	__hip_cuid_8cc75563ad0c122e,@object ; @__hip_cuid_8cc75563ad0c122e
	.section	.bss,"aw",@nobits
	.globl	__hip_cuid_8cc75563ad0c122e
__hip_cuid_8cc75563ad0c122e:
	.byte	0                               ; 0x0
	.size	__hip_cuid_8cc75563ad0c122e, 1

	.ident	"AMD clang version 19.0.0git (https://github.com/RadeonOpenCompute/llvm-project roc-6.4.0 25133 c7fe45cf4b819c5991fe208aaa96edf142730f1d)"
	.section	".note.GNU-stack","",@progbits
	.addrsig
	.addrsig_sym __hip_cuid_8cc75563ad0c122e
	.amdgpu_metadata
---
amdhsa.kernels:
  - .args:
      - .actual_access:  read_only
        .address_space:  global
        .offset:         0
        .size:           8
        .value_kind:     global_buffer
      - .offset:         8
        .size:           8
        .value_kind:     by_value
      - .actual_access:  read_only
        .address_space:  global
        .offset:         16
        .size:           8
        .value_kind:     global_buffer
      - .actual_access:  read_only
        .address_space:  global
        .offset:         24
        .size:           8
        .value_kind:     global_buffer
      - .offset:         32
        .size:           8
        .value_kind:     by_value
      - .actual_access:  read_only
        .address_space:  global
        .offset:         40
        .size:           8
        .value_kind:     global_buffer
      - .actual_access:  read_only
        .address_space:  global
        .offset:         48
        .size:           8
        .value_kind:     global_buffer
      - .offset:         56
        .size:           4
        .value_kind:     by_value
      - .actual_access:  read_only
        .address_space:  global
        .offset:         64
        .size:           8
        .value_kind:     global_buffer
      - .actual_access:  read_only
        .address_space:  global
        .offset:         72
        .size:           8
        .value_kind:     global_buffer
      - .address_space:  global
        .offset:         80
        .size:           8
        .value_kind:     global_buffer
    .group_segment_fixed_size: 0
    .kernarg_segment_align: 8
    .kernarg_segment_size: 88
    .language:       OpenCL C
    .language_version:
      - 2
      - 0
    .max_flat_workgroup_size: 102
    .name:           fft_rtc_fwd_len1530_factors_17_3_6_5_wgs_102_tpt_102_halfLds_half_ip_CI_unitstride_sbrr_C2R_dirReg
    .private_segment_fixed_size: 0
    .sgpr_count:     23
    .sgpr_spill_count: 0
    .symbol:         fft_rtc_fwd_len1530_factors_17_3_6_5_wgs_102_tpt_102_halfLds_half_ip_CI_unitstride_sbrr_C2R_dirReg.kd
    .uniform_work_group_size: 1
    .uses_dynamic_stack: false
    .vgpr_count:     177
    .vgpr_spill_count: 0
    .wavefront_size: 32
    .workgroup_processor_mode: 1
amdhsa.target:   amdgcn-amd-amdhsa--gfx1030
amdhsa.version:
  - 1
  - 2
...

	.end_amdgpu_metadata
